;; amdgpu-corpus repo=ROCm/rocFFT kind=compiled arch=gfx950 opt=O3
	.text
	.amdgcn_target "amdgcn-amd-amdhsa--gfx950"
	.amdhsa_code_object_version 6
	.protected	bluestein_single_back_len2048_dim1_half_op_CI_CI ; -- Begin function bluestein_single_back_len2048_dim1_half_op_CI_CI
	.globl	bluestein_single_back_len2048_dim1_half_op_CI_CI
	.p2align	8
	.type	bluestein_single_back_len2048_dim1_half_op_CI_CI,@function
bluestein_single_back_len2048_dim1_half_op_CI_CI: ; @bluestein_single_back_len2048_dim1_half_op_CI_CI
; %bb.0:
	s_load_dwordx4 s[8:11], s[0:1], 0x28
	s_mov_b32 s3, 0
	s_waitcnt lgkmcnt(0)
	v_mov_b32_e32 v2, s8
	v_mov_b32_e32 v3, s9
	v_cmp_lt_u64_e32 vcc, s[2:3], v[2:3]
	s_and_saveexec_b64 s[4:5], vcc
	s_cbranch_execz .LBB0_23
; %bb.1:
	s_load_dwordx2 s[8:9], s[0:1], 0x0
	s_load_dwordx2 s[12:13], s[0:1], 0x38
	v_mov_b64_e32 v[28:29], s[2:3]
	s_movk_i32 s2, 0x80
	v_cmp_gt_u32_e32 vcc, s2, v0
	v_lshlrev_b32_e32 v1, 2, v0
	s_and_saveexec_b64 s[2:3], vcc
	s_cbranch_execz .LBB0_3
; %bb.2:
	s_load_dwordx2 s[4:5], s[0:1], 0x18
	v_mov_b32_e32 v2, s10
	v_mov_b32_e32 v3, s11
	s_waitcnt lgkmcnt(0)
	global_load_dword v21, v1, s[8:9]
	v_or_b32_e32 v34, 0x780, v0
	s_load_dwordx4 s[4:7], s[4:5], 0x0
	v_or_b32_e32 v15, 0x180, v0
	v_or_b32_e32 v17, 0x280, v0
	;; [unrolled: 1-line block ×4, first 2 shown]
	s_waitcnt lgkmcnt(0)
	v_mad_u64_u32 v[4:5], s[10:11], s6, v28, 0
	v_mad_u64_u32 v[6:7], s[10:11], s4, v0, 0
	v_mov_b32_e32 v8, v5
	v_mov_b32_e32 v10, v7
	v_mad_u64_u32 v[8:9], s[6:7], s7, v28, v[8:9]
	v_mov_b32_e32 v5, v8
	v_mad_u64_u32 v[8:9], s[6:7], s5, v0, v[10:11]
	v_mov_b32_e32 v7, v8
	v_lshl_add_u64 v[2:3], v[4:5], 2, v[2:3]
	v_or_b32_e32 v9, 0x80, v0
	v_lshl_add_u64 v[4:5], v[6:7], 2, v[2:3]
	v_mad_u64_u32 v[6:7], s[6:7], s4, v9, 0
	v_mov_b32_e32 v8, v7
	v_mad_u64_u32 v[8:9], s[6:7], s5, v9, v[8:9]
	v_mov_b32_e32 v7, v8
	global_load_dword v22, v[4:5], off
	v_lshl_add_u64 v[6:7], v[6:7], 2, v[2:3]
	global_load_dword v23, v[6:7], off
	global_load_dword v24, v1, s[8:9] offset:512
	s_lshl_b64 s[6:7], s[4:5], 10
	v_lshl_add_u64 v[4:5], v[4:5], 0, s[6:7]
	global_load_dword v25, v[4:5], off
	global_load_dword v26, v1, s[8:9] offset:1024
	v_or_b32_e32 v6, 0x1000, v1
	global_load_dword v27, v1, s[8:9] offset:1536
	global_load_dword v29, v1, s[8:9] offset:2048
	;; [unrolled: 1-line block ×5, first 2 shown]
	global_load_dword v35, v6, s[8:9]
	v_lshlrev_b32_e32 v6, 2, v34
	global_load_dword v36, v6, s[8:9]
	v_mad_u64_u32 v[6:7], s[10:11], s4, v15, 0
	v_mov_b32_e32 v14, v7
	v_mad_u64_u32 v[14:15], s[10:11], s5, v15, v[14:15]
	v_mov_b32_e32 v7, v14
	v_lshl_add_u64 v[6:7], v[6:7], 2, v[2:3]
	global_load_dword v14, v[6:7], off
	v_lshl_add_u64 v[4:5], v[4:5], 0, s[6:7]
	global_load_dword v15, v[4:5], off
	v_mad_u64_u32 v[8:9], s[10:11], s4, v17, 0
	v_mad_u64_u32 v[10:11], s[10:11], s4, v19, 0
	v_mov_b32_e32 v16, v9
	v_mov_b32_e32 v18, v11
	v_mad_u64_u32 v[16:17], s[10:11], s5, v17, v[16:17]
	v_mad_u64_u32 v[18:19], s[10:11], s5, v19, v[18:19]
	v_mov_b32_e32 v9, v16
	v_mov_b32_e32 v11, v18
	v_lshl_add_u64 v[8:9], v[8:9], 2, v[2:3]
	v_lshl_add_u64 v[10:11], v[10:11], 2, v[2:3]
	v_lshl_add_u64 v[4:5], v[4:5], 0, s[6:7]
	global_load_dword v16, v[8:9], off
	global_load_dword v17, v[4:5], off
	;; [unrolled: 1-line block ×3, first 2 shown]
	v_mad_u64_u32 v[12:13], s[10:11], s4, v33, 0
	v_mov_b32_e32 v20, v13
	v_lshl_add_u64 v[4:5], v[4:5], 0, s[6:7]
	global_load_dword v10, v[4:5], off
	s_waitcnt vmcnt(18)
	v_mad_u64_u32 v[6:7], s[10:11], s5, v33, v[20:21]
	s_waitcnt vmcnt(17)
	v_lshrrev_b32_e32 v7, 16, v22
	v_mul_f16_sdwa v8, v21, v22 dst_sel:DWORD dst_unused:UNUSED_PAD src0_sel:WORD_1 src1_sel:DWORD
	s_waitcnt vmcnt(16)
	v_lshrrev_b32_e32 v9, 16, v23
	s_waitcnt vmcnt(15)
	v_mul_f16_sdwa v11, v24, v23 dst_sel:DWORD dst_unused:UNUSED_PAD src0_sel:WORD_1 src1_sel:DWORD
	v_mul_f16_sdwa v13, v21, v7 dst_sel:DWORD dst_unused:UNUSED_PAD src0_sel:WORD_1 src1_sel:DWORD
	v_fma_f16 v7, v21, v7, -v8
	v_mul_f16_sdwa v8, v24, v9 dst_sel:DWORD dst_unused:UNUSED_PAD src0_sel:WORD_1 src1_sel:DWORD
	v_fma_f16 v9, v24, v9, -v11
	v_fma_f16 v13, v21, v22, v13
	v_fma_f16 v8, v24, v23, v8
	v_pack_b32_f16 v7, v13, v7
	v_pack_b32_f16 v8, v8, v9
	v_mov_b32_e32 v13, v6
	ds_write2st64_b32 v1, v7, v8 offset1:2
	v_lshl_add_u64 v[6:7], v[12:13], 2, v[2:3]
	global_load_dword v12, v[6:7], off
	v_lshlrev_b32_e32 v6, 2, v33
	global_load_dword v13, v6, s[8:9]
	v_or_b32_e32 v6, 0x1400, v1
	v_or_b32_e32 v22, 0x580, v0
	s_waitcnt vmcnt(16)
	v_lshrrev_b32_e32 v11, 16, v25
	global_load_dword v21, v6, s[8:9]
	v_mad_u64_u32 v[6:7], s[10:11], s4, v22, 0
	s_waitcnt vmcnt(16)
	v_mul_f16_sdwa v19, v26, v25 dst_sel:DWORD dst_unused:UNUSED_PAD src0_sel:WORD_1 src1_sel:DWORD
	v_mul_f16_sdwa v20, v26, v11 dst_sel:DWORD dst_unused:UNUSED_PAD src0_sel:WORD_1 src1_sel:DWORD
	v_lshl_add_u64 v[4:5], v[4:5], 0, s[6:7]
	v_mov_b32_e32 v8, v7
	v_fma_f16 v11, v26, v11, -v19
	v_fma_f16 v19, v26, v25, v20
	global_load_dword v20, v[4:5], off
	v_mad_u64_u32 v[8:9], s[10:11], s5, v22, v[8:9]
	v_mov_b32_e32 v7, v8
	v_lshl_add_u64 v[6:7], v[6:7], 2, v[2:3]
	global_load_dword v23, v[6:7], off
	v_lshlrev_b32_e32 v6, 2, v22
	global_load_dword v22, v6, s[8:9]
	v_or_b32_e32 v6, 0x1800, v1
	v_or_b32_e32 v26, 0x680, v0
	global_load_dword v25, v6, s[8:9]
	v_mad_u64_u32 v[6:7], s[10:11], s4, v26, 0
	v_lshl_add_u64 v[4:5], v[4:5], 0, s[6:7]
	v_mov_b32_e32 v8, v7
	global_load_dword v24, v[4:5], off
	v_mad_u64_u32 v[8:9], s[10:11], s5, v26, v[8:9]
	v_mov_b32_e32 v7, v8
	v_lshl_add_u64 v[6:7], v[6:7], 2, v[2:3]
	global_load_dword v8, v[6:7], off
	v_lshlrev_b32_e32 v6, 2, v26
	v_lshl_add_u64 v[4:5], v[4:5], 0, s[6:7]
	global_load_dword v9, v6, s[8:9]
	global_load_dword v26, v[4:5], off
	v_or_b32_e32 v4, 0x1c00, v1
	global_load_dword v33, v4, s[8:9]
	v_mad_u64_u32 v[4:5], s[6:7], s4, v34, 0
	v_mov_b32_e32 v6, v5
	v_mad_u64_u32 v[6:7], s[4:5], s5, v34, v[6:7]
	v_mov_b32_e32 v5, v6
	v_lshl_add_u64 v[2:3], v[4:5], 2, v[2:3]
	global_load_dword v2, v[2:3], off
	s_waitcnt vmcnt(18)
	v_lshrrev_b32_e32 v4, 16, v14
	v_mul_f16_sdwa v5, v27, v4 dst_sel:DWORD dst_unused:UNUSED_PAD src0_sel:WORD_1 src1_sel:DWORD
	v_mul_f16_sdwa v6, v27, v14 dst_sel:DWORD dst_unused:UNUSED_PAD src0_sel:WORD_1 src1_sel:DWORD
	v_fma_f16 v5, v27, v14, v5
	v_fma_f16 v4, v27, v4, -v6
	v_pack_b32_f16 v3, v19, v11
	v_pack_b32_f16 v4, v5, v4
	ds_write2st64_b32 v1, v3, v4 offset0:4 offset1:6
	s_waitcnt vmcnt(17)
	v_lshrrev_b32_e32 v3, 16, v15
	v_mul_f16_sdwa v4, v29, v3 dst_sel:DWORD dst_unused:UNUSED_PAD src0_sel:WORD_1 src1_sel:DWORD
	v_mul_f16_sdwa v5, v29, v15 dst_sel:DWORD dst_unused:UNUSED_PAD src0_sel:WORD_1 src1_sel:DWORD
	v_fma_f16 v4, v29, v15, v4
	v_fma_f16 v3, v29, v3, -v5
	v_pack_b32_f16 v3, v4, v3
	s_waitcnt vmcnt(16)
	v_lshrrev_b32_e32 v4, 16, v16
	v_mul_f16_sdwa v5, v30, v4 dst_sel:DWORD dst_unused:UNUSED_PAD src0_sel:WORD_1 src1_sel:DWORD
	v_mul_f16_sdwa v6, v30, v16 dst_sel:DWORD dst_unused:UNUSED_PAD src0_sel:WORD_1 src1_sel:DWORD
	v_fma_f16 v5, v30, v16, v5
	v_fma_f16 v4, v30, v4, -v6
	v_pack_b32_f16 v4, v5, v4
	ds_write2st64_b32 v1, v3, v4 offset0:8 offset1:10
	s_waitcnt vmcnt(15)
	v_lshrrev_b32_e32 v3, 16, v17
	v_mul_f16_sdwa v4, v31, v3 dst_sel:DWORD dst_unused:UNUSED_PAD src0_sel:WORD_1 src1_sel:DWORD
	v_mul_f16_sdwa v5, v31, v17 dst_sel:DWORD dst_unused:UNUSED_PAD src0_sel:WORD_1 src1_sel:DWORD
	v_fma_f16 v4, v31, v17, v4
	v_fma_f16 v3, v31, v3, -v5
	v_pack_b32_f16 v3, v4, v3
	s_waitcnt vmcnt(14)
	v_lshrrev_b32_e32 v4, 16, v18
	v_mul_f16_sdwa v5, v32, v4 dst_sel:DWORD dst_unused:UNUSED_PAD src0_sel:WORD_1 src1_sel:DWORD
	v_mul_f16_sdwa v6, v32, v18 dst_sel:DWORD dst_unused:UNUSED_PAD src0_sel:WORD_1 src1_sel:DWORD
	v_fma_f16 v5, v32, v18, v5
	v_fma_f16 v4, v32, v4, -v6
	v_pack_b32_f16 v4, v5, v4
	ds_write2st64_b32 v1, v3, v4 offset0:12 offset1:14
	s_waitcnt vmcnt(13)
	v_lshrrev_b32_e32 v3, 16, v10
	v_mul_f16_sdwa v4, v35, v3 dst_sel:DWORD dst_unused:UNUSED_PAD src0_sel:WORD_1 src1_sel:DWORD
	v_mul_f16_sdwa v5, v35, v10 dst_sel:DWORD dst_unused:UNUSED_PAD src0_sel:WORD_1 src1_sel:DWORD
	v_fma_f16 v4, v35, v10, v4
	v_fma_f16 v3, v35, v3, -v5
	v_pack_b32_f16 v3, v4, v3
	s_waitcnt vmcnt(12)
	v_lshrrev_b32_e32 v4, 16, v12
	s_waitcnt vmcnt(11)
	v_mul_f16_sdwa v5, v13, v4 dst_sel:DWORD dst_unused:UNUSED_PAD src0_sel:WORD_1 src1_sel:DWORD
	v_mul_f16_sdwa v6, v13, v12 dst_sel:DWORD dst_unused:UNUSED_PAD src0_sel:WORD_1 src1_sel:DWORD
	v_fma_f16 v5, v13, v12, v5
	v_fma_f16 v4, v13, v4, -v6
	v_pack_b32_f16 v4, v5, v4
	ds_write2st64_b32 v1, v3, v4 offset0:16 offset1:18
	s_waitcnt vmcnt(9)
	v_lshrrev_b32_e32 v3, 16, v20
	v_mul_f16_sdwa v4, v21, v3 dst_sel:DWORD dst_unused:UNUSED_PAD src0_sel:WORD_1 src1_sel:DWORD
	v_mul_f16_sdwa v5, v21, v20 dst_sel:DWORD dst_unused:UNUSED_PAD src0_sel:WORD_1 src1_sel:DWORD
	v_fma_f16 v4, v21, v20, v4
	v_fma_f16 v3, v21, v3, -v5
	v_pack_b32_f16 v3, v4, v3
	s_waitcnt vmcnt(8)
	v_lshrrev_b32_e32 v4, 16, v23
	s_waitcnt vmcnt(7)
	;; [unrolled: 16-line block ×3, first 2 shown]
	v_mul_f16_sdwa v5, v9, v4 dst_sel:DWORD dst_unused:UNUSED_PAD src0_sel:WORD_1 src1_sel:DWORD
	v_mul_f16_sdwa v6, v9, v8 dst_sel:DWORD dst_unused:UNUSED_PAD src0_sel:WORD_1 src1_sel:DWORD
	v_fma_f16 v5, v9, v8, v5
	v_fma_f16 v4, v9, v4, -v6
	v_pack_b32_f16 v4, v5, v4
	ds_write2st64_b32 v1, v3, v4 offset0:24 offset1:26
	s_waitcnt vmcnt(2)
	v_lshrrev_b32_e32 v3, 16, v26
	s_waitcnt vmcnt(1)
	v_mul_f16_sdwa v4, v33, v3 dst_sel:DWORD dst_unused:UNUSED_PAD src0_sel:WORD_1 src1_sel:DWORD
	v_mul_f16_sdwa v5, v33, v26 dst_sel:DWORD dst_unused:UNUSED_PAD src0_sel:WORD_1 src1_sel:DWORD
	v_fma_f16 v4, v33, v26, v4
	v_fma_f16 v3, v33, v3, -v5
	v_pack_b32_f16 v3, v4, v3
	s_waitcnt vmcnt(0)
	v_lshrrev_b32_e32 v4, 16, v2
	v_mul_f16_sdwa v5, v36, v4 dst_sel:DWORD dst_unused:UNUSED_PAD src0_sel:WORD_1 src1_sel:DWORD
	v_fma_f16 v5, v36, v2, v5
	v_mul_f16_sdwa v2, v36, v2 dst_sel:DWORD dst_unused:UNUSED_PAD src0_sel:WORD_1 src1_sel:DWORD
	v_fma_f16 v2, v36, v4, -v2
	v_pack_b32_f16 v2, v5, v2
	ds_write2st64_b32 v1, v3, v2 offset0:28 offset1:30
.LBB0_3:
	s_or_b64 exec, exec, s[2:3]
	s_waitcnt lgkmcnt(0)
	s_barrier
	s_waitcnt lgkmcnt(0)
                                        ; implicit-def: $vgpr2
                                        ; implicit-def: $vgpr10
                                        ; implicit-def: $vgpr6
                                        ; implicit-def: $vgpr14
                                        ; implicit-def: $vgpr4
                                        ; implicit-def: $vgpr12
                                        ; implicit-def: $vgpr8
                                        ; implicit-def: $vgpr16
                                        ; implicit-def: $vgpr17
	s_and_saveexec_b64 s[2:3], vcc
	s_cbranch_execz .LBB0_5
; %bb.4:
	v_or_b32_e32 v16, 0xe00, v1
	v_or_b32_e32 v17, 0x1e00, v1
	ds_read2st64_b32 v[2:3], v1 offset1:2
	ds_read2st64_b32 v[4:5], v1 offset0:4 offset1:6
	ds_read2st64_b32 v[6:7], v1 offset0:8 offset1:10
	;; [unrolled: 1-line block ×6, first 2 shown]
	ds_read_b32 v16, v16
	ds_read_b32 v17, v17
.LBB0_5:
	s_or_b64 exec, exec, s[2:3]
	s_waitcnt lgkmcnt(4)
	v_pk_add_f16 v10, v2, v10 neg_lo:[0,1] neg_hi:[0,1]
	s_waitcnt lgkmcnt(2)
	v_pk_add_f16 v14, v6, v14 neg_lo:[0,1] neg_hi:[0,1]
	v_pk_add_f16 v12, v4, v12 neg_lo:[0,1] neg_hi:[0,1]
	;; [unrolled: 1-line block ×3, first 2 shown]
	v_sub_f16_sdwa v18, v10, v14 dst_sel:DWORD dst_unused:UNUSED_PAD src0_sel:DWORD src1_sel:WORD_1
	v_lshrrev_b32_e32 v19, 16, v10
	v_sub_f16_sdwa v22, v12, v9 dst_sel:DWORD dst_unused:UNUSED_PAD src0_sel:DWORD src1_sel:WORD_1
	v_lshrrev_b32_e32 v23, 16, v12
	v_pk_add_f16 v11, v3, v11 neg_lo:[0,1] neg_hi:[0,1]
	v_pk_add_f16 v15, v7, v15 neg_lo:[0,1] neg_hi:[0,1]
	;; [unrolled: 1-line block ×3, first 2 shown]
	s_waitcnt lgkmcnt(0)
	v_pk_add_f16 v17, v16, v17 neg_lo:[0,1] neg_hi:[0,1]
	v_add_f16_e32 v20, v14, v19
	v_fma_f16 v21, v10, 2.0, -v18
	v_add_f16_e32 v24, v9, v23
	v_fma_f16 v25, v12, 2.0, -v22
	s_mov_b32 s2, 0xb9a8
	v_fma_f16 v19, v19, 2.0, -v20
	v_fma_f16 v23, v23, 2.0, -v24
	v_fma_f16 v35, v25, s2, v21
	s_movk_i32 s3, 0x39a8
	v_pk_fma_f16 v2, v2, 2.0, v10 op_sel_hi:[1,0,1] neg_lo:[0,0,1] neg_hi:[0,0,1]
	v_pk_fma_f16 v6, v6, 2.0, v14 op_sel_hi:[1,0,1] neg_lo:[0,0,1] neg_hi:[0,0,1]
	v_pk_fma_f16 v4, v4, 2.0, v12 op_sel_hi:[1,0,1] neg_lo:[0,0,1] neg_hi:[0,0,1]
	v_pk_fma_f16 v8, v8, 2.0, v9 op_sel_hi:[1,0,1] neg_lo:[0,0,1] neg_hi:[0,0,1]
	v_pk_fma_f16 v3, v3, 2.0, v11 op_sel_hi:[1,0,1] neg_lo:[0,0,1] neg_hi:[0,0,1]
	v_pk_fma_f16 v7, v7, 2.0, v15 op_sel_hi:[1,0,1] neg_lo:[0,0,1] neg_hi:[0,0,1]
	v_pk_fma_f16 v5, v5, 2.0, v13 op_sel_hi:[1,0,1] neg_lo:[0,0,1] neg_hi:[0,0,1]
	v_pk_fma_f16 v9, v16, 2.0, v17 op_sel_hi:[1,0,1] neg_lo:[0,0,1] neg_hi:[0,0,1]
	v_sub_f16_sdwa v26, v11, v15 dst_sel:DWORD dst_unused:UNUSED_PAD src0_sel:DWORD src1_sel:WORD_1
	v_lshrrev_b32_e32 v27, 16, v11
	v_sub_f16_sdwa v31, v13, v17 dst_sel:DWORD dst_unused:UNUSED_PAD src0_sel:DWORD src1_sel:WORD_1
	v_lshrrev_b32_e32 v32, 16, v13
	v_fma_f16 v36, v23, s2, v19
	v_fma_f16 v42, v23, s2, v35
	;; [unrolled: 1-line block ×3, first 2 shown]
	v_pk_add_f16 v6, v2, v6 neg_lo:[0,1] neg_hi:[0,1]
	v_pk_add_f16 v8, v4, v8 neg_lo:[0,1] neg_hi:[0,1]
	;; [unrolled: 1-line block ×4, first 2 shown]
	v_add_f16_e32 v29, v15, v27
	v_fma_f16 v30, v11, 2.0, -v26
	v_add_f16_e32 v33, v17, v32
	v_fma_f16 v34, v13, 2.0, -v31
	v_fma_f16 v44, v25, s3, v36
	v_fma_f16 v25, v24, s3, v20
	;; [unrolled: 1-line block ×3, first 2 shown]
	v_pk_fma_f16 v2, v2, 2.0, v6 op_sel_hi:[1,0,1] neg_lo:[0,0,1] neg_hi:[0,0,1]
	v_pk_fma_f16 v4, v4, 2.0, v8 op_sel_hi:[1,0,1] neg_lo:[0,0,1] neg_hi:[0,0,1]
	;; [unrolled: 1-line block ×4, first 2 shown]
	v_fma_f16 v27, v27, 2.0, -v29
	v_fma_f16 v32, v32, 2.0, -v33
	v_fma_f16 v22, v22, s3, v25
	v_fma_f16 v25, v18, 2.0, -v48
	v_fma_f16 v18, v34, s2, v30
	v_pk_add_f16 v4, v2, v4 neg_lo:[0,1] neg_hi:[0,1]
	v_pk_add_f16 v5, v3, v5 neg_lo:[0,1] neg_hi:[0,1]
	v_fma_f16 v23, v32, s2, v27
	v_fma_f16 v45, v32, s2, v18
	;; [unrolled: 1-line block ×3, first 2 shown]
	v_pk_fma_f16 v2, v2, 2.0, v4 op_sel_hi:[1,0,1] neg_lo:[0,0,1] neg_hi:[0,0,1]
	v_pk_fma_f16 v3, v3, 2.0, v5 op_sel_hi:[1,0,1] neg_lo:[0,0,1] neg_hi:[0,0,1]
	v_fma_f16 v21, v21, 2.0, -v42
	v_fma_f16 v37, v34, s3, v23
	v_fma_f16 v23, v30, 2.0, -v45
	v_fma_f16 v30, v33, s2, v18
	v_sub_f16_sdwa v10, v6, v8 dst_sel:DWORD dst_unused:UNUSED_PAD src0_sel:DWORD src1_sel:WORD_1
	v_sub_f16_sdwa v12, v7, v9 dst_sel:DWORD dst_unused:UNUSED_PAD src0_sel:DWORD src1_sel:WORD_1
	v_lshrrev_b32_e32 v13, 16, v7
	v_pk_add_f16 v18, v2, v3 neg_lo:[0,1] neg_hi:[0,1]
	s_mov_b32 s6, 0xbb64
	v_fma_f16 v24, v27, 2.0, -v37
	v_fma_f16 v27, v33, s3, v29
	v_lshrrev_b32_e32 v11, 16, v6
	v_fma_f16 v6, v6, 2.0, -v10
	v_add_f16_e32 v9, v9, v13
	v_fma_f16 v7, v7, 2.0, -v12
	v_pk_fma_f16 v14, v2, 2.0, v18 op_sel_hi:[1,0,1] neg_lo:[0,0,1] neg_hi:[0,0,1]
	v_fma_f16 v2, v23, s6, v21
	s_mov_b32 s7, 0xb61f
	v_fma_f16 v19, v19, 2.0, -v44
	v_fma_f16 v51, v31, s3, v27
	v_fma_f16 v26, v26, 2.0, -v30
	v_add_f16_e32 v8, v8, v11
	v_fma_f16 v13, v13, 2.0, -v9
	v_fma_f16 v31, v24, s7, v2
	v_fma_f16 v2, v7, s2, v6
	v_fma_f16 v27, v29, 2.0, -v51
	v_fma_f16 v11, v11, 2.0, -v8
	v_fma_f16 v3, v24, s6, v19
	s_movk_i32 s10, 0x361f
	v_fma_f16 v34, v13, s2, v2
	v_fma_f16 v2, v26, s7, v25
	v_fma_f16 v20, v20, 2.0, -v22
	v_fma_f16 v43, v23, s10, v3
	v_fma_f16 v3, v13, s2, v11
	;; [unrolled: 1-line block ×3, first 2 shown]
	v_lshrrev_b32_e32 v2, 16, v4
	v_fma_f16 v46, v7, s3, v3
	v_fma_f16 v3, v27, s7, v20
	s_movk_i32 s11, 0x3b64
	v_add_f16_e32 v49, v5, v2
	s_load_dwordx2 s[4:5], s[0:1], 0x8
	v_fma_f16 v47, v26, s11, v3
	v_fma_f16 v41, v2, 2.0, -v49
	v_fma_f16 v2, v45, s10, v42
	v_fma_f16 v3, v37, s10, v44
	;; [unrolled: 1-line block ×10, first 2 shown]
	v_sub_f16_sdwa v36, v4, v5 dst_sel:DWORD dst_unused:UNUSED_PAD src0_sel:DWORD src1_sel:WORD_1
	v_fma_f16 v51, v51, s7, v2
	v_fma_f16 v53, v30, s10, v3
	v_fma_f16 v23, v21, 2.0, -v31
	v_fma_f16 v38, v19, 2.0, -v43
	;; [unrolled: 1-line block ×13, first 2 shown]
	v_lshlrev_b32_e32 v44, 6, v0
	s_waitcnt lgkmcnt(0)
	s_barrier
	s_and_saveexec_b64 s[2:3], vcc
	s_cbranch_execz .LBB0_7
; %bb.6:
	s_mov_b32 s6, 0x5040100
	v_perm_b32 v5, v54, v48, s6
	v_perm_b32 v4, v45, v26, s6
	;; [unrolled: 1-line block ×7, first 2 shown]
	ds_write_b128 v44, v[2:5] offset:16
	v_perm_b32 v21, v47, v35, s6
	v_perm_b32 v20, v46, v34, s6
	;; [unrolled: 1-line block ×7, first 2 shown]
	ds_write_b128 v44, v[14:17]
	ds_write_b128 v44, v[18:21] offset:32
	ds_write_b128 v44, v[2:5] offset:48
.LBB0_7:
	s_or_b64 exec, exec, s[2:3]
	s_load_dwordx2 s[0:1], s[0:1], 0x20
	s_waitcnt lgkmcnt(0)
	s_barrier
	s_and_saveexec_b64 s[2:3], vcc
	s_cbranch_execz .LBB0_9
; %bb.8:
	v_or_b32_e32 v2, 0xe00, v1
	ds_read2st64_b32 v[22:23], v1 offset1:2
	ds_read2st64_b32 v[24:25], v1 offset0:4 offset1:6
	ds_read2st64_b32 v[32:33], v1 offset0:8 offset1:10
	;; [unrolled: 1-line block ×4, first 2 shown]
	ds_read_b32 v48, v2
	ds_read2st64_b32 v[34:35], v1 offset0:20 offset1:22
	ds_read2st64_b32 v[36:37], v1 offset0:24 offset1:26
	v_or_b32_e32 v2, 0x1e00, v1
	ds_read_b32 v51, v2
	s_waitcnt lgkmcnt(8)
	v_lshrrev_b32_e32 v38, 16, v23
	s_waitcnt lgkmcnt(7)
	v_lshrrev_b32_e32 v39, 16, v24
	v_lshrrev_b32_e32 v40, 16, v25
	s_waitcnt lgkmcnt(6)
	v_lshrrev_b32_e32 v41, 16, v32
	;; [unrolled: 3-line block ×3, first 2 shown]
	s_waitcnt lgkmcnt(3)
	v_lshrrev_b32_e32 v54, 16, v48
	v_lshrrev_b32_e32 v43, 16, v31
	s_waitcnt lgkmcnt(2)
	v_lshrrev_b32_e32 v46, 16, v34
	v_lshrrev_b32_e32 v47, 16, v35
	;; [unrolled: 3-line block ×3, first 2 shown]
	v_lshrrev_b32_e32 v52, 16, v27
	s_waitcnt lgkmcnt(0)
	v_lshrrev_b32_e32 v53, 16, v51
	v_mov_b32_e32 v18, v30
	v_mov_b32_e32 v14, v22
.LBB0_9:
	s_or_b64 exec, exec, s[2:3]
	v_and_b32_e32 v29, 15, v0
	v_mad_u64_u32 v[16:17], s[2:3], v29, 60, s[4:5]
	global_load_dwordx4 v[2:5], v[16:17], off
	global_load_dwordx4 v[6:9], v[16:17], off offset:16
	global_load_dwordx4 v[10:13], v[16:17], off offset:32
	global_load_dwordx3 v[20:22], v[16:17], off offset:48
	v_lshrrev_b32_e32 v15, 16, v18
	v_lshrrev_b32_e32 v16, 16, v14
	s_mov_b32 s6, 0xb9a8
	s_movk_i32 s7, 0x39a8
	s_mov_b32 s2, 0xbb64
	s_mov_b32 s3, 0xb61f
	s_barrier
	s_waitcnt vmcnt(3)
	v_mul_f16_sdwa v17, v38, v2 dst_sel:DWORD dst_unused:UNUSED_PAD src0_sel:DWORD src1_sel:WORD_1
	v_mul_f16_sdwa v19, v23, v2 dst_sel:DWORD dst_unused:UNUSED_PAD src0_sel:DWORD src1_sel:WORD_1
	v_mul_f16_sdwa v30, v39, v3 dst_sel:DWORD dst_unused:UNUSED_PAD src0_sel:DWORD src1_sel:WORD_1
	s_waitcnt vmcnt(2)
	v_mul_f16_sdwa v56, v18, v9 dst_sel:DWORD dst_unused:UNUSED_PAD src0_sel:DWORD src1_sel:WORD_1
	v_mul_f16_sdwa v57, v24, v3 dst_sel:DWORD dst_unused:UNUSED_PAD src0_sel:DWORD src1_sel:WORD_1
	v_mul_f16_sdwa v58, v40, v4 dst_sel:DWORD dst_unused:UNUSED_PAD src0_sel:DWORD src1_sel:WORD_1
	v_mul_f16_sdwa v59, v25, v4 dst_sel:DWORD dst_unused:UNUSED_PAD src0_sel:DWORD src1_sel:WORD_1
	v_mul_f16_sdwa v60, v41, v5 dst_sel:DWORD dst_unused:UNUSED_PAD src0_sel:DWORD src1_sel:WORD_1
	v_mul_f16_sdwa v61, v32, v5 dst_sel:DWORD dst_unused:UNUSED_PAD src0_sel:DWORD src1_sel:WORD_1
	v_mul_f16_sdwa v62, v42, v6 dst_sel:DWORD dst_unused:UNUSED_PAD src0_sel:DWORD src1_sel:WORD_1
	s_waitcnt vmcnt(1)
	v_mul_f16_sdwa v66, v46, v11 dst_sel:DWORD dst_unused:UNUSED_PAD src0_sel:DWORD src1_sel:WORD_1
	v_mul_f16_sdwa v67, v47, v12 dst_sel:DWORD dst_unused:UNUSED_PAD src0_sel:DWORD src1_sel:WORD_1
	v_mul_f16_sdwa v68, v34, v11 dst_sel:DWORD dst_unused:UNUSED_PAD src0_sel:DWORD src1_sel:WORD_1
	v_mul_f16_sdwa v69, v35, v12 dst_sel:DWORD dst_unused:UNUSED_PAD src0_sel:DWORD src1_sel:WORD_1
	;; [unrolled: 8-line block ×3, first 2 shown]
	v_mul_f16_sdwa v64, v43, v10 dst_sel:DWORD dst_unused:UNUSED_PAD src0_sel:DWORD src1_sel:WORD_1
	v_mul_f16_sdwa v74, v49, v13 dst_sel:DWORD dst_unused:UNUSED_PAD src0_sel:DWORD src1_sel:WORD_1
	;; [unrolled: 1-line block ×3, first 2 shown]
	v_fma_f16 v17, v23, v2, -v17
	v_fma_f16 v23, v24, v3, -v30
	;; [unrolled: 1-line block ×7, first 2 shown]
	v_fma_f16 v19, v38, v2, v19
	v_fma_f16 v34, v39, v3, v57
	;; [unrolled: 1-line block ×9, first 2 shown]
	v_fma_f16 v26, v26, v7, -v70
	v_fma_f16 v27, v27, v21, -v78
	v_fma_f16 v49, v52, v21, v79
	v_mul_f16_sdwa v65, v31, v10 dst_sel:DWORD dst_unused:UNUSED_PAD src0_sel:DWORD src1_sel:WORD_1
	v_mul_f16_sdwa v77, v37, v20 dst_sel:DWORD dst_unused:UNUSED_PAD src0_sel:DWORD src1_sel:WORD_1
	v_fma_f16 v18, v18, v9, -v55
	v_fma_f16 v31, v31, v10, -v64
	;; [unrolled: 1-line block ×4, first 2 shown]
	v_sub_f16_e32 v15, v16, v15
	v_sub_f16_e32 v47, v38, v47
	;; [unrolled: 1-line block ×6, first 2 shown]
	v_mul_f16_sdwa v72, v54, v8 dst_sel:DWORD dst_unused:UNUSED_PAD src0_sel:DWORD src1_sel:WORD_1
	v_mul_f16_sdwa v73, v48, v8 dst_sel:DWORD dst_unused:UNUSED_PAD src0_sel:DWORD src1_sel:WORD_1
	;; [unrolled: 1-line block ×4, first 2 shown]
	v_sub_f16_e32 v18, v14, v18
	v_sub_f16_e32 v36, v25, v36
	;; [unrolled: 1-line block ×3, first 2 shown]
	v_fma_f16 v16, v16, 2.0, -v15
	v_fma_f16 v38, v38, 2.0, -v47
	;; [unrolled: 1-line block ×6, first 2 shown]
	v_sub_f16_e32 v37, v30, v37
	v_fma_f16 v39, v42, v6, v63
	v_fma_f16 v41, v48, v8, -v72
	v_fma_f16 v42, v54, v8, v73
	v_fma_f16 v43, v43, v10, v65
	;; [unrolled: 1-line block ×3, first 2 shown]
	v_fma_f16 v50, v51, v22, -v80
	v_fma_f16 v51, v53, v22, v81
	v_fma_f16 v14, v14, 2.0, -v18
	v_fma_f16 v25, v25, 2.0, -v36
	;; [unrolled: 1-line block ×4, first 2 shown]
	v_sub_f16_e32 v38, v16, v38
	v_add_f16_e32 v53, v15, v36
	v_sub_f16_e32 v26, v23, v26
	v_sub_f16_e32 v40, v34, v40
	;; [unrolled: 1-line block ×9, first 2 shown]
	v_fma_f16 v25, v16, 2.0, -v38
	v_sub_f16_e32 v47, v18, v47
	v_fma_f16 v36, v15, 2.0, -v53
	v_fma_f16 v15, v23, 2.0, -v26
	;; [unrolled: 1-line block ×3, first 2 shown]
	v_sub_f16_e32 v34, v32, v49
	v_add_f16_e32 v49, v45, v27
	v_sub_f16_e32 v30, v17, v30
	v_fma_f16 v19, v19, 2.0, -v43
	v_fma_f16 v39, v39, 2.0, -v48
	;; [unrolled: 1-line block ×11, first 2 shown]
	v_sub_f16_e32 v17, v25, v23
	v_sub_f16_e32 v45, v19, v39
	;; [unrolled: 1-line block ×5, first 2 shown]
	v_fma_f16 v15, v25, 2.0, -v17
	v_fma_f16 v23, v27, s6, v18
	v_fma_f16 v25, v32, s6, v36
	v_fma_f16 v19, v19, 2.0, -v45
	v_sub_f16_e32 v48, v31, v48
	v_add_f16_e32 v55, v43, v37
	v_fma_f16 v57, v24, 2.0, -v56
	v_fma_f16 v35, v35, 2.0, -v42
	v_sub_f16_e32 v51, v33, v51
	v_add_f16_e32 v50, v46, v50
	v_fma_f16 v24, v32, s6, v23
	v_fma_f16 v25, v27, s7, v25
	v_add_f16_e32 v37, v38, v26
	v_fma_f16 v32, v34, s7, v47
	v_fma_f16 v31, v31, 2.0, -v48
	v_fma_f16 v43, v43, 2.0, -v55
	;; [unrolled: 1-line block ×5, first 2 shown]
	v_sub_f16_e32 v36, v52, v40
	v_fma_f16 v27, v38, 2.0, -v37
	v_fma_f16 v38, v49, s7, v53
	v_fma_f16 v40, v49, s6, v32
	v_sub_f16_e32 v35, v19, v35
	v_fma_f16 v41, v34, s7, v38
	v_fma_f16 v38, v47, 2.0, -v40
	v_sub_f16_e32 v34, v54, v57
	v_fma_f16 v47, v19, 2.0, -v35
	v_fma_f16 v19, v33, s6, v31
	v_fma_f16 v49, v46, s6, v43
	v_sub_f16_e32 v42, v30, v42
	v_fma_f16 v26, v52, 2.0, -v36
	v_fma_f16 v39, v53, 2.0, -v41
	;; [unrolled: 1-line block ×3, first 2 shown]
	v_fma_f16 v52, v46, s6, v19
	v_fma_f16 v54, v33, s7, v49
	v_fma_f16 v53, v30, 2.0, -v42
	v_fma_f16 v30, v50, s7, v55
	v_fma_f16 v14, v14, 2.0, -v16
	v_fma_f16 v18, v18, 2.0, -v24
	;; [unrolled: 1-line block ×4, first 2 shown]
	v_add_f16_e32 v43, v45, v56
	v_fma_f16 v19, v51, s7, v48
	v_fma_f16 v57, v51, s7, v30
	v_fma_f16 v45, v45, 2.0, -v43
	v_fma_f16 v56, v50, s6, v19
	v_fma_f16 v51, v55, 2.0, -v57
	v_sub_f16_e32 v19, v14, v32
	v_fma_f16 v30, v31, s2, v18
	v_fma_f16 v32, v33, s2, v23
	v_fma_f16 v48, v48, 2.0, -v56
	v_fma_f16 v30, v33, s3, v30
	v_fma_f16 v46, v31, s10, v32
	;; [unrolled: 1-line block ×4, first 2 shown]
	v_sub_f16_e32 v49, v15, v47
	v_fma_f16 v31, v53, s6, v26
	v_fma_f16 v50, v53, s7, v32
	;; [unrolled: 1-line block ×4, first 2 shown]
	v_sub_f16_e32 v33, v16, v35
	v_fma_f16 v35, v54, s10, v25
	v_fma_f16 v31, v45, s6, v31
	;; [unrolled: 1-line block ×3, first 2 shown]
	v_add_f16_e32 v53, v17, v34
	v_fma_f16 v34, v52, s10, v24
	v_fma_f16 v51, v52, s11, v35
	;; [unrolled: 1-line block ×11, first 2 shown]
	v_lshlrev_b32_e32 v45, 4, v0
	s_and_saveexec_b64 s[2:3], vcc
	s_cbranch_execz .LBB0_11
; %bb.10:
	s_movk_i32 s10, 0x700
	v_fma_f16 v18, v18, 2.0, -v30
	v_fma_f16 v23, v23, 2.0, -v46
	;; [unrolled: 1-line block ×4, first 2 shown]
	v_and_or_b32 v42, v45, s10, v29
	v_fma_f16 v38, v38, 2.0, -v32
	v_fma_f16 v39, v39, 2.0, -v47
	v_fma_f16 v26, v26, 2.0, -v31
	v_fma_f16 v27, v27, 2.0, -v50
	v_lshlrev_b32_e32 v42, 2, v42
	v_pack_b32_f16 v14, v14, v15
	v_pack_b32_f16 v15, v18, v23
	v_fma_f16 v24, v24, 2.0, -v34
	v_fma_f16 v25, v25, 2.0, -v51
	v_fma_f16 v16, v16, 2.0, -v33
	v_fma_f16 v17, v17, 2.0, -v53
	ds_write2_b32 v42, v14, v15 offset1:16
	v_pack_b32_f16 v14, v26, v27
	v_pack_b32_f16 v15, v38, v39
	v_fma_f16 v40, v40, 2.0, -v48
	v_fma_f16 v41, v41, 2.0, -v52
	;; [unrolled: 1-line block ×4, first 2 shown]
	ds_write2_b32 v42, v14, v15 offset0:32 offset1:48
	v_pack_b32_f16 v14, v16, v17
	v_pack_b32_f16 v15, v24, v25
	ds_write2_b32 v42, v14, v15 offset0:64 offset1:80
	v_pack_b32_f16 v14, v36, v37
	v_pack_b32_f16 v15, v40, v41
	s_mov_b32 s10, 0x5040100
	ds_write2_b32 v42, v14, v15 offset0:96 offset1:112
	v_perm_b32 v14, v49, v19, s10
	v_perm_b32 v15, v46, v30, s10
	ds_write2_b32 v42, v14, v15 offset0:128 offset1:144
	v_perm_b32 v14, v50, v31, s10
	v_perm_b32 v15, v47, v32, s10
	;; [unrolled: 3-line block ×4, first 2 shown]
	ds_write2_b32 v42, v14, v15 offset0:224 offset1:240
.LBB0_11:
	s_or_b64 exec, exec, s[2:3]
	v_mad_u64_u32 v[36:37], s[4:5], v0, 28, s[4:5]
	s_load_dwordx4 s[0:3], s[0:1], 0x0
	s_waitcnt lgkmcnt(0)
	s_barrier
	global_load_dwordx4 v[14:17], v[36:37], off offset:960
	global_load_dwordx3 v[24:26], v[36:37], off offset:976
	ds_read2st64_b32 v[36:37], v1 offset1:4
	ds_read2st64_b32 v[38:39], v1 offset0:8 offset1:12
	ds_read2st64_b32 v[40:41], v1 offset0:16 offset1:20
	;; [unrolled: 1-line block ×3, first 2 shown]
	v_or_b32_e32 v23, 0x400, v0
	s_waitcnt lgkmcnt(3)
	v_lshrrev_b32_e32 v55, 16, v37
	s_waitcnt lgkmcnt(2)
	v_lshrrev_b32_e32 v56, 16, v38
	v_lshrrev_b32_e32 v57, 16, v39
	s_waitcnt lgkmcnt(1)
	v_lshrrev_b32_e32 v58, 16, v40
	v_lshrrev_b32_e32 v59, 16, v41
	s_waitcnt lgkmcnt(0)
	v_lshrrev_b32_e32 v60, 16, v42
	v_lshrrev_b32_e32 v61, 16, v43
	v_lshrrev_b32_e32 v18, 16, v36
	v_or_b32_e32 v27, 0x500, v0
	v_or_b32_e32 v64, 0x600, v0
	;; [unrolled: 1-line block ×3, first 2 shown]
	s_waitcnt vmcnt(1)
	v_mul_f16_sdwa v63, v37, v14 dst_sel:DWORD dst_unused:UNUSED_PAD src0_sel:DWORD src1_sel:WORD_1
	v_mul_f16_sdwa v67, v38, v15 dst_sel:DWORD dst_unused:UNUSED_PAD src0_sel:DWORD src1_sel:WORD_1
	;; [unrolled: 1-line block ×4, first 2 shown]
	s_waitcnt vmcnt(0)
	v_mul_f16_sdwa v73, v41, v24 dst_sel:DWORD dst_unused:UNUSED_PAD src0_sel:DWORD src1_sel:WORD_1
	v_mul_f16_sdwa v75, v42, v25 dst_sel:DWORD dst_unused:UNUSED_PAD src0_sel:DWORD src1_sel:WORD_1
	;; [unrolled: 1-line block ×10, first 2 shown]
	v_fma_f16 v55, v55, v14, v63
	v_fma_f16 v56, v56, v15, v67
	;; [unrolled: 1-line block ×7, first 2 shown]
	v_sub_f16_e32 v58, v18, v58
	v_sub_f16_e32 v60, v56, v60
	;; [unrolled: 1-line block ×4, first 2 shown]
	v_fma_f16 v37, v37, v14, -v62
	v_fma_f16 v38, v38, v15, -v66
	;; [unrolled: 1-line block ×6, first 2 shown]
	v_fma_f16 v18, v18, 2.0, -v58
	v_fma_f16 v56, v56, 2.0, -v60
	;; [unrolled: 1-line block ×4, first 2 shown]
	v_fma_f16 v40, v40, v17, -v70
	v_sub_f16_e32 v42, v38, v42
	v_sub_f16_e32 v41, v37, v41
	;; [unrolled: 1-line block ×6, first 2 shown]
	v_fma_f16 v38, v38, 2.0, -v42
	v_fma_f16 v39, v39, 2.0, -v43
	v_add_f16_e32 v42, v58, v42
	v_sub_f16_e32 v63, v41, v61
	v_add_f16_e32 v43, v59, v43
	v_fma_f16 v18, v18, 2.0, -v56
	v_fma_f16 v55, v55, 2.0, -v67
	;; [unrolled: 1-line block ×3, first 2 shown]
	v_sub_f16_e32 v66, v40, v60
	v_fma_f16 v62, v58, 2.0, -v42
	v_fma_f16 v57, v41, 2.0, -v63
	;; [unrolled: 1-line block ×3, first 2 shown]
	v_sub_f16_e32 v61, v18, v55
	v_fma_f16 v36, v36, 2.0, -v40
	v_fma_f16 v60, v40, 2.0, -v66
	;; [unrolled: 1-line block ×3, first 2 shown]
	v_fma_f16 v18, v41, s6, v62
	v_sub_f16_e32 v38, v36, v38
	v_sub_f16_e32 v39, v37, v39
	v_fma_f16 v59, v57, s6, v60
	v_fma_f16 v57, v57, s7, v18
	v_fma_f16 v36, v36, 2.0, -v38
	v_fma_f16 v37, v37, 2.0, -v39
	v_fma_f16 v41, v41, s6, v59
	v_fma_f16 v55, v62, 2.0, -v57
	v_add_f16_e32 v62, v56, v39
	v_sub_f16_e32 v40, v36, v37
	v_fma_f16 v37, v60, 2.0, -v41
	v_fma_f16 v60, v56, 2.0, -v62
	v_fma_f16 v39, v63, s7, v66
	v_fma_f16 v56, v43, s7, v42
	v_fma_f16 v36, v36, 2.0, -v40
	v_sub_f16_e32 v18, v38, v67
	v_fma_f16 v59, v43, s6, v39
	v_fma_f16 v63, v63, s7, v56
	v_fma_f16 v38, v38, 2.0, -v18
	v_fma_f16 v39, v66, 2.0, -v59
	;; [unrolled: 1-line block ×3, first 2 shown]
	v_pack_b32_f16 v42, v36, v58
	v_pack_b32_f16 v43, v37, v55
	ds_write2st64_b32 v1, v42, v43 offset1:4
	v_pack_b32_f16 v42, v38, v60
	v_pack_b32_f16 v43, v39, v56
	ds_write2st64_b32 v1, v42, v43 offset0:8 offset1:12
	v_pack_b32_f16 v42, v40, v61
	v_pack_b32_f16 v43, v41, v57
	ds_write2st64_b32 v1, v42, v43 offset0:16 offset1:20
	;; [unrolled: 3-line block ×3, first 2 shown]
	v_lshlrev_b32_e32 v43, 2, v23
	v_lshlrev_b32_e32 v42, 2, v27
	;; [unrolled: 1-line block ×4, first 2 shown]
	s_waitcnt lgkmcnt(0)
	s_barrier
	s_and_saveexec_b64 s[4:5], vcc
	s_cbranch_execz .LBB0_13
; %bb.12:
	s_add_u32 s6, s8, 0x2000
	s_addc_u32 s7, s9, 0
	global_load_dword v74, v1, s[6:7]
	global_load_dword v75, v1, s[6:7] offset:512
	global_load_dword v76, v1, s[6:7] offset:1024
	;; [unrolled: 1-line block ×7, first 2 shown]
	global_load_dword v82, v43, s[6:7]
	v_or_b32_e32 v64, 0x1200, v1
	global_load_dword v83, v64, s[6:7]
	global_load_dword v84, v42, s[6:7]
	v_or_b32_e32 v85, 0x1600, v1
	ds_read2st64_b32 v[64:65], v1 offset1:2
	ds_read2st64_b32 v[66:67], v1 offset0:4 offset1:6
	ds_read2st64_b32 v[68:69], v1 offset0:8 offset1:10
	;; [unrolled: 1-line block ×4, first 2 shown]
	global_load_dword v85, v85, s[6:7]
	v_or_b32_e32 v86, 0x1a00, v1
	v_or_b32_e32 v87, 0x1e00, v1
	global_load_dword v88, v86, s[6:7]
	global_load_dword v89, v27, s[6:7]
	;; [unrolled: 1-line block ×4, first 2 shown]
	s_waitcnt lgkmcnt(4)
	v_lshrrev_b32_e32 v86, 16, v64
	v_lshrrev_b32_e32 v87, 16, v65
	s_waitcnt lgkmcnt(3)
	v_lshrrev_b32_e32 v92, 16, v66
	v_lshrrev_b32_e32 v93, 16, v67
	;; [unrolled: 3-line block ×5, first 2 shown]
	s_waitcnt vmcnt(15)
	v_mul_f16_sdwa v100, v86, v74 dst_sel:DWORD dst_unused:UNUSED_PAD src0_sel:DWORD src1_sel:WORD_1
	v_mul_f16_sdwa v101, v64, v74 dst_sel:DWORD dst_unused:UNUSED_PAD src0_sel:DWORD src1_sel:WORD_1
	s_waitcnt vmcnt(14)
	v_mul_f16_sdwa v102, v87, v75 dst_sel:DWORD dst_unused:UNUSED_PAD src0_sel:DWORD src1_sel:WORD_1
	v_mul_f16_sdwa v103, v65, v75 dst_sel:DWORD dst_unused:UNUSED_PAD src0_sel:DWORD src1_sel:WORD_1
	;; [unrolled: 3-line block ×8, first 2 shown]
	v_fma_f16 v64, v64, v74, -v100
	v_fma_f16 v74, v86, v74, v101
	v_fma_f16 v65, v65, v75, -v102
	v_fma_f16 v75, v87, v75, v103
	;; [unrolled: 2-line block ×8, first 2 shown]
	v_pack_b32_f16 v64, v64, v74
	v_pack_b32_f16 v65, v65, v75
	;; [unrolled: 1-line block ×8, first 2 shown]
	ds_write2st64_b32 v1, v64, v65 offset1:2
	ds_write2st64_b32 v1, v66, v67 offset0:4 offset1:6
	ds_write2st64_b32 v1, v68, v69 offset0:8 offset1:10
	;; [unrolled: 1-line block ×3, first 2 shown]
	s_waitcnt vmcnt(6)
	v_mul_f16_sdwa v64, v99, v83 dst_sel:DWORD dst_unused:UNUSED_PAD src0_sel:DWORD src1_sel:WORD_1
	v_fma_f16 v66, v73, v83, -v64
	ds_read2st64_b32 v[64:65], v1 offset0:20 offset1:22
	v_mul_f16_sdwa v116, v98, v82 dst_sel:DWORD dst_unused:UNUSED_PAD src0_sel:DWORD src1_sel:WORD_1
	v_mul_f16_sdwa v117, v72, v82 dst_sel:DWORD dst_unused:UNUSED_PAD src0_sel:DWORD src1_sel:WORD_1
	v_mul_f16_sdwa v67, v73, v83 dst_sel:DWORD dst_unused:UNUSED_PAD src0_sel:DWORD src1_sel:WORD_1
	v_fma_f16 v72, v72, v82, -v116
	v_fma_f16 v82, v98, v82, v117
	v_fma_f16 v67, v99, v83, v67
	v_pack_b32_f16 v72, v72, v82
	v_pack_b32_f16 v66, v66, v67
	ds_write2st64_b32 v1, v72, v66 offset0:16 offset1:18
	s_waitcnt lgkmcnt(1)
	v_lshrrev_b32_e32 v66, 16, v64
	s_waitcnt vmcnt(5)
	v_mul_f16_sdwa v67, v66, v84 dst_sel:DWORD dst_unused:UNUSED_PAD src0_sel:DWORD src1_sel:WORD_1
	v_fma_f16 v67, v64, v84, -v67
	v_mul_f16_sdwa v64, v64, v84 dst_sel:DWORD dst_unused:UNUSED_PAD src0_sel:DWORD src1_sel:WORD_1
	v_lshrrev_b32_e32 v68, 16, v65
	v_fma_f16 v64, v66, v84, v64
	s_waitcnt vmcnt(4)
	v_mul_f16_sdwa v66, v68, v85 dst_sel:DWORD dst_unused:UNUSED_PAD src0_sel:DWORD src1_sel:WORD_1
	v_pack_b32_f16 v64, v67, v64
	v_fma_f16 v69, v65, v85, -v66
	ds_read2st64_b32 v[66:67], v1 offset0:24 offset1:26
	v_mul_f16_sdwa v65, v65, v85 dst_sel:DWORD dst_unused:UNUSED_PAD src0_sel:DWORD src1_sel:WORD_1
	v_fma_f16 v65, v68, v85, v65
	v_pack_b32_f16 v65, v69, v65
	ds_write2st64_b32 v1, v64, v65 offset0:20 offset1:22
	s_waitcnt lgkmcnt(1)
	v_lshrrev_b32_e32 v64, 16, v66
	s_waitcnt vmcnt(2)
	v_mul_f16_sdwa v65, v64, v89 dst_sel:DWORD dst_unused:UNUSED_PAD src0_sel:DWORD src1_sel:WORD_1
	v_fma_f16 v65, v66, v89, -v65
	v_mul_f16_sdwa v66, v66, v89 dst_sel:DWORD dst_unused:UNUSED_PAD src0_sel:DWORD src1_sel:WORD_1
	v_fma_f16 v64, v64, v89, v66
	v_lshrrev_b32_e32 v68, 16, v67
	v_pack_b32_f16 v66, v65, v64
	v_mul_f16_sdwa v64, v68, v88 dst_sel:DWORD dst_unused:UNUSED_PAD src0_sel:DWORD src1_sel:WORD_1
	v_fma_f16 v69, v67, v88, -v64
	ds_read2st64_b32 v[64:65], v1 offset0:28 offset1:30
	v_mul_f16_sdwa v67, v67, v88 dst_sel:DWORD dst_unused:UNUSED_PAD src0_sel:DWORD src1_sel:WORD_1
	v_fma_f16 v67, v68, v88, v67
	v_pack_b32_f16 v67, v69, v67
	ds_write2st64_b32 v1, v66, v67 offset0:24 offset1:26
	s_waitcnt lgkmcnt(1)
	v_lshrrev_b32_e32 v66, 16, v64
	s_waitcnt vmcnt(1)
	v_mul_f16_sdwa v67, v66, v90 dst_sel:DWORD dst_unused:UNUSED_PAD src0_sel:DWORD src1_sel:WORD_1
	v_fma_f16 v67, v64, v90, -v67
	v_mul_f16_sdwa v64, v64, v90 dst_sel:DWORD dst_unused:UNUSED_PAD src0_sel:DWORD src1_sel:WORD_1
	v_fma_f16 v64, v66, v90, v64
	v_lshrrev_b32_e32 v66, 16, v65
	v_pack_b32_f16 v64, v67, v64
	s_waitcnt vmcnt(0)
	v_mul_f16_sdwa v67, v66, v91 dst_sel:DWORD dst_unused:UNUSED_PAD src0_sel:DWORD src1_sel:WORD_1
	v_fma_f16 v67, v65, v91, -v67
	v_mul_f16_sdwa v65, v65, v91 dst_sel:DWORD dst_unused:UNUSED_PAD src0_sel:DWORD src1_sel:WORD_1
	v_fma_f16 v65, v66, v91, v65
	v_pack_b32_f16 v65, v67, v65
	ds_write2st64_b32 v1, v64, v65 offset0:28 offset1:30
.LBB0_13:
	s_or_b64 exec, exec, s[4:5]
	s_waitcnt lgkmcnt(0)
	s_barrier
	s_and_saveexec_b64 s[4:5], vcc
	s_cbranch_execz .LBB0_15
; %bb.14:
	v_or_b32_e32 v30, 0xe00, v1
	v_or_b32_e32 v32, 0x1e00, v1
	ds_read2st64_b32 v[36:37], v1 offset1:2
	ds_read2st64_b32 v[38:39], v1 offset0:4 offset1:6
	ds_read2st64_b32 v[40:41], v1 offset0:8 offset1:10
	;; [unrolled: 1-line block ×3, first 2 shown]
	ds_read_b32 v59, v30
	ds_read_b32 v48, v32
	ds_read2st64_b32 v[30:31], v1 offset0:18 offset1:20
	ds_read2st64_b32 v[32:33], v1 offset0:22 offset1:24
	;; [unrolled: 1-line block ×3, first 2 shown]
	s_waitcnt lgkmcnt(8)
	v_lshrrev_b32_e32 v58, 16, v36
	v_lshrrev_b32_e32 v55, 16, v37
	s_waitcnt lgkmcnt(7)
	v_lshrrev_b32_e32 v60, 16, v38
	v_lshrrev_b32_e32 v56, 16, v39
	s_waitcnt lgkmcnt(6)
	v_lshrrev_b32_e32 v61, 16, v40
	v_lshrrev_b32_e32 v57, 16, v41
	s_waitcnt lgkmcnt(5)
	v_lshrrev_b32_e32 v62, 16, v18
	s_waitcnt lgkmcnt(4)
	v_lshrrev_b32_e32 v63, 16, v59
	v_lshrrev_b32_e32 v49, 16, v19
	s_waitcnt lgkmcnt(2)
	v_lshrrev_b32_e32 v46, 16, v30
	;; [unrolled: 3-line block ×4, first 2 shown]
	v_lshrrev_b32_e32 v54, 16, v35
	v_lshrrev_b32_e32 v52, 16, v48
.LBB0_15:
	s_or_b64 exec, exec, s[4:5]
	v_sub_f16_e32 v49, v58, v49
	v_sub_f16_e32 v53, v61, v53
	;; [unrolled: 1-line block ×5, first 2 shown]
	v_fma_f16 v58, v58, 2.0, -v49
	v_sub_f16_e32 v33, v40, v33
	v_fma_f16 v61, v61, 2.0, -v53
	v_sub_f16_e32 v31, v38, v31
	;; [unrolled: 2-line block ×3, first 2 shown]
	v_fma_f16 v62, v62, 2.0, -v54
	v_fma_f16 v36, v36, 2.0, -v19
	;; [unrolled: 1-line block ×5, first 2 shown]
	v_sub_f16_e32 v61, v58, v61
	v_sub_f16_e32 v33, v49, v33
	;; [unrolled: 1-line block ×13, first 2 shown]
	v_fma_f16 v58, v58, 2.0, -v61
	v_add_f16_e32 v53, v53, v19
	v_fma_f16 v49, v49, 2.0, -v33
	v_sub_f16_e32 v18, v38, v18
	v_fma_f16 v60, v60, 2.0, -v62
	v_add_f16_e32 v54, v54, v31
	v_fma_f16 v50, v50, 2.0, -v35
	s_mov_b32 s4, 0xb9a8
	v_fma_f16 v37, v37, 2.0, -v30
	v_fma_f16 v55, v55, 2.0, -v46
	;; [unrolled: 1-line block ×12, first 2 shown]
	v_sub_f16_e32 v34, v46, v34
	v_sub_f16_e32 v48, v47, v48
	;; [unrolled: 1-line block ×3, first 2 shown]
	v_fma_f16 v65, v50, s4, v49
	s_movk_i32 s5, 0x39a8
	v_sub_f16_e32 v41, v37, v41
	v_sub_f16_e32 v57, v55, v57
	v_add_f16_e32 v51, v51, v30
	v_fma_f16 v46, v46, 2.0, -v34
	v_sub_f16_e32 v59, v39, v59
	v_sub_f16_e32 v63, v56, v63
	v_add_f16_e32 v52, v52, v32
	v_fma_f16 v47, v47, 2.0, -v48
	v_sub_f16_e32 v64, v36, v38
	v_fma_f16 v38, v58, 2.0, -v60
	v_fma_f16 v58, v31, s4, v19
	v_fma_f16 v65, v31, s4, v65
	v_sub_f16_e32 v67, v61, v18
	v_fma_f16 v18, v54, s5, v53
	v_fma_f16 v37, v37, 2.0, -v41
	v_fma_f16 v55, v55, 2.0, -v57
	;; [unrolled: 1-line block ×6, first 2 shown]
	v_fma_f16 v58, v50, s5, v58
	v_fma_f16 v50, v49, 2.0, -v65
	v_fma_f16 v31, v35, s5, v33
	v_fma_f16 v68, v35, s5, v18
	;; [unrolled: 1-line block ×4, first 2 shown]
	v_fma_f16 v35, v53, 2.0, -v68
	v_sub_f16_e32 v53, v37, v39
	v_sub_f16_e32 v39, v55, v56
	v_fma_f16 v31, v32, s4, v30
	v_fma_f16 v70, v32, s4, v49
	v_fma_f16 v18, v37, 2.0, -v53
	v_fma_f16 v37, v55, 2.0, -v39
	v_fma_f16 v55, v47, s5, v31
	v_fma_f16 v32, v46, 2.0, -v70
	v_fma_f16 v31, v52, s5, v51
	v_fma_f16 v46, v48, s5, v34
	v_fma_f16 v36, v36, 2.0, -v64
	v_fma_f16 v19, v19, 2.0, -v58
	;; [unrolled: 1-line block ×3, first 2 shown]
	v_sub_f16_e32 v59, v57, v59
	v_fma_f16 v71, v48, s5, v31
	v_fma_f16 v72, v52, s4, v46
	s_mov_b32 s6, 0xbb64
	v_add_f16_e32 v66, v62, v40
	v_fma_f16 v61, v61, 2.0, -v67
	v_add_f16_e32 v63, v63, v41
	v_fma_f16 v54, v57, 2.0, -v59
	v_fma_f16 v48, v51, 2.0, -v71
	;; [unrolled: 1-line block ×3, first 2 shown]
	v_sub_f16_e32 v31, v36, v18
	v_fma_f16 v34, v30, s6, v19
	s_movk_i32 s7, 0x361f
	v_fma_f16 v40, v40, 2.0, -v66
	v_fma_f16 v33, v33, 2.0, -v69
	;; [unrolled: 1-line block ×3, first 2 shown]
	v_sub_f16_e32 v49, v38, v37
	v_fma_f16 v18, v36, 2.0, -v31
	v_fma_f16 v37, v32, s6, v50
	v_fma_f16 v36, v32, s7, v34
	s_mov_b32 s10, 0xb61f
	v_fma_f16 v32, v54, s4, v61
	v_fma_f16 v52, v30, s10, v37
	;; [unrolled: 1-line block ×8, first 2 shown]
	v_fma_f16 v46, v38, 2.0, -v49
	v_fma_f16 v47, v50, 2.0, -v52
	v_fma_f16 v38, v51, s11, v30
	v_fma_f16 v50, v33, 2.0, -v56
	v_fma_f16 v30, v55, s7, v58
	v_fma_f16 v33, v70, s7, v65
	v_fma_f16 v34, v40, 2.0, -v37
	v_fma_f16 v40, v70, s11, v30
	v_fma_f16 v57, v55, s6, v33
	;; [unrolled: 1-line block ×4, first 2 shown]
	v_sub_f16_e32 v53, v60, v53
	v_fma_f16 v41, v59, s5, v30
	v_fma_f16 v63, v63, s4, v55
	;; [unrolled: 1-line block ×4, first 2 shown]
	v_add_f16_e32 v39, v39, v64
	v_fma_f16 v48, v60, 2.0, -v53
	v_fma_f16 v33, v58, 2.0, -v40
	v_fma_f16 v58, v72, s7, v55
	v_fma_f16 v60, v71, s10, v59
	v_fma_f16 v19, v19, 2.0, -v36
	v_fma_f16 v54, v61, 2.0, -v62
	;; [unrolled: 1-line block ×9, first 2 shown]
	s_barrier
	s_and_saveexec_b64 s[4:5], vcc
	s_cbranch_execz .LBB0_17
; %bb.16:
	s_mov_b32 s6, 0x5040100
	v_perm_b32 v67, v50, v35, s6
	v_perm_b32 v66, v54, v34, s6
	;; [unrolled: 1-line block ×4, first 2 shown]
	ds_write_b128 v44, v[64:67]
	v_perm_b32 v67, v59, v55, s6
	v_perm_b32 v66, v61, v30, s6
	v_perm_b32 v65, v51, v33, s6
	v_perm_b32 v64, v48, v32, s6
	ds_write_b128 v44, v[64:67] offset:16
	v_perm_b32 v67, v56, v38, s6
	v_perm_b32 v66, v62, v37, s6
	v_perm_b32 v65, v52, v36, s6
	v_perm_b32 v64, v49, v31, s6
	ds_write_b128 v44, v[64:67] offset:32
	;; [unrolled: 5-line block ×3, first 2 shown]
.LBB0_17:
	s_or_b64 exec, exec, s[4:5]
	s_waitcnt lgkmcnt(0)
	s_barrier
	s_and_saveexec_b64 s[4:5], vcc
	s_cbranch_execz .LBB0_19
; %bb.18:
	v_or_b32_e32 v36, 0xe00, v1
	v_or_b32_e32 v38, 0x1e00, v1
	ds_read2st64_b32 v[18:19], v1 offset1:2
	ds_read2st64_b32 v[34:35], v1 offset0:4 offset1:6
	ds_read2st64_b32 v[32:33], v1 offset0:8 offset1:10
	;; [unrolled: 1-line block ×3, first 2 shown]
	ds_read_b32 v55, v36
	ds_read_b32 v58, v38
	ds_read2st64_b32 v[36:37], v1 offset0:18 offset1:20
	ds_read2st64_b32 v[38:39], v1 offset0:22 offset1:24
	;; [unrolled: 1-line block ×3, first 2 shown]
	s_waitcnt lgkmcnt(8)
	v_lshrrev_b32_e32 v46, 16, v18
	v_lshrrev_b32_e32 v47, 16, v19
	s_waitcnt lgkmcnt(7)
	v_lshrrev_b32_e32 v54, 16, v34
	v_lshrrev_b32_e32 v50, 16, v35
	;; [unrolled: 3-line block ×3, first 2 shown]
	s_waitcnt lgkmcnt(5)
	v_lshrrev_b32_e32 v61, 16, v30
	s_waitcnt lgkmcnt(4)
	v_lshrrev_b32_e32 v59, 16, v55
	v_lshrrev_b32_e32 v49, 16, v31
	s_waitcnt lgkmcnt(2)
	v_lshrrev_b32_e32 v52, 16, v36
	;; [unrolled: 3-line block ×4, first 2 shown]
	v_lshrrev_b32_e32 v63, 16, v41
	v_lshrrev_b32_e32 v60, 16, v58
.LBB0_19:
	s_or_b64 exec, exec, s[4:5]
	s_barrier
	s_and_saveexec_b64 s[4:5], vcc
	s_cbranch_execz .LBB0_21
; %bb.20:
	v_mul_f16_sdwa v65, v7, v61 dst_sel:DWORD dst_unused:UNUSED_PAD src0_sel:WORD_1 src1_sel:DWORD
	v_fma_f16 v65, v7, v30, v65
	v_mul_f16_sdwa v30, v7, v30 dst_sel:DWORD dst_unused:UNUSED_PAD src0_sel:WORD_1 src1_sel:DWORD
	v_mul_f16_sdwa v66, v21, v63 dst_sel:DWORD dst_unused:UNUSED_PAD src0_sel:WORD_1 src1_sel:DWORD
	v_fma_f16 v7, v7, v61, -v30
	v_mul_f16_sdwa v30, v21, v41 dst_sel:DWORD dst_unused:UNUSED_PAD src0_sel:WORD_1 src1_sel:DWORD
	v_mul_f16_sdwa v73, v6, v51 dst_sel:DWORD dst_unused:UNUSED_PAD src0_sel:WORD_1 src1_sel:DWORD
	;; [unrolled: 1-line block ×4, first 2 shown]
	v_fma_f16 v66, v21, v41, v66
	v_fma_f16 v21, v21, v63, -v30
	v_mul_f16_sdwa v30, v3, v54 dst_sel:DWORD dst_unused:UNUSED_PAD src0_sel:WORD_1 src1_sel:DWORD
	v_mul_f16_sdwa v41, v9, v49 dst_sel:DWORD dst_unused:UNUSED_PAD src0_sel:WORD_1 src1_sel:DWORD
	v_fma_f16 v73, v6, v33, v73
	v_mul_f16_sdwa v33, v6, v33 dst_sel:DWORD dst_unused:UNUSED_PAD src0_sel:WORD_1 src1_sel:DWORD
	v_fma_f16 v44, v3, v54, -v44
	v_fma_f16 v64, v11, v62, -v64
	v_fma_f16 v3, v3, v34, v30
	v_mul_f16_sdwa v30, v11, v62 dst_sel:DWORD dst_unused:UNUSED_PAD src0_sel:WORD_1 src1_sel:DWORD
	v_fma_f16 v41, v9, v31, v41
	v_mul_f16_sdwa v62, v4, v35 dst_sel:DWORD dst_unused:UNUSED_PAD src0_sel:WORD_1 src1_sel:DWORD
	v_mul_f16_sdwa v68, v8, v59 dst_sel:DWORD dst_unused:UNUSED_PAD src0_sel:WORD_1 src1_sel:DWORD
	;; [unrolled: 1-line block ×3, first 2 shown]
	v_fma_f16 v6, v6, v51, -v33
	v_mul_f16_sdwa v33, v20, v40 dst_sel:DWORD dst_unused:UNUSED_PAD src0_sel:WORD_1 src1_sel:DWORD
	v_mul_f16_sdwa v31, v9, v31 dst_sel:DWORD dst_unused:UNUSED_PAD src0_sel:WORD_1 src1_sel:DWORD
	;; [unrolled: 1-line block ×3, first 2 shown]
	v_fma_f16 v62, v4, v50, -v62
	v_fma_f16 v68, v8, v55, v68
	v_mul_f16_sdwa v71, v2, v19 dst_sel:DWORD dst_unused:UNUSED_PAD src0_sel:WORD_1 src1_sel:DWORD
	v_fma_f16 v74, v20, v40, v74
	v_mul_f16_sdwa v55, v8, v55 dst_sel:DWORD dst_unused:UNUSED_PAD src0_sel:WORD_1 src1_sel:DWORD
	v_mul_f16_sdwa v50, v4, v50 dst_sel:DWORD dst_unused:UNUSED_PAD src0_sel:WORD_1 src1_sel:DWORD
	v_fma_f16 v20, v20, v57, -v33
	v_mul_f16_sdwa v33, v2, v47 dst_sel:DWORD dst_unused:UNUSED_PAD src0_sel:WORD_1 src1_sel:DWORD
	v_fma_f16 v9, v9, v49, -v31
	v_mul_f16_sdwa v31, v5, v48 dst_sel:DWORD dst_unused:UNUSED_PAD src0_sel:WORD_1 src1_sel:DWORD
	v_fma_f16 v11, v11, v37, v30
	v_fma_f16 v34, v5, v48, -v34
	v_mul_f16_sdwa v37, v13, v39 dst_sel:DWORD dst_unused:UNUSED_PAD src0_sel:WORD_1 src1_sel:DWORD
	v_mul_f16_sdwa v63, v12, v38 dst_sel:DWORD dst_unused:UNUSED_PAD src0_sel:WORD_1 src1_sel:DWORD
	;; [unrolled: 1-line block ×3, first 2 shown]
	v_fma_f16 v71, v2, v47, -v71
	v_mul_f16_sdwa v72, v10, v36 dst_sel:DWORD dst_unused:UNUSED_PAD src0_sel:WORD_1 src1_sel:DWORD
	v_fma_f16 v8, v8, v59, -v55
	v_mul_f16_sdwa v55, v22, v58 dst_sel:DWORD dst_unused:UNUSED_PAD src0_sel:WORD_1 src1_sel:DWORD
	v_fma_f16 v4, v4, v35, v50
	v_mul_f16_sdwa v35, v12, v56 dst_sel:DWORD dst_unused:UNUSED_PAD src0_sel:WORD_1 src1_sel:DWORD
	v_fma_f16 v2, v2, v19, v33
	;; [unrolled: 2-line block ×3, first 2 shown]
	v_mul_f16_sdwa v31, v13, v53 dst_sel:DWORD dst_unused:UNUSED_PAD src0_sel:WORD_1 src1_sel:DWORD
	v_fma_f16 v37, v13, v53, -v37
	v_fma_f16 v63, v12, v56, -v63
	v_fma_f16 v69, v22, v58, v69
	v_fma_f16 v72, v10, v52, -v72
	v_fma_f16 v22, v22, v60, -v55
	v_fma_f16 v12, v12, v38, v35
	v_fma_f16 v10, v10, v36, v19
	;; [unrolled: 1-line block ×3, first 2 shown]
	v_sub_f16_e32 v64, v44, v64
	v_sub_f16_e32 v66, v65, v66
	;; [unrolled: 1-line block ×17, first 2 shown]
	v_add_f16_e32 v30, v21, v11
	v_add_f16_e32 v54, v37, v41
	s_movk_i32 s6, 0x39a8
	v_sub_f16_e32 v70, v63, v69
	v_sub_f16_e32 v75, v72, v74
	v_add_f16_e32 v35, v22, v12
	v_add_f16_e32 v19, v20, v10
	v_sub_f16_e32 v31, v9, v13
	v_fma_f16 v44, v44, 2.0, -v64
	v_fma_f16 v7, v7, 2.0, -v21
	;; [unrolled: 1-line block ×8, first 2 shown]
	v_fma_f16 v61, v30, s6, v54
	v_fma_f16 v76, v70, s6, v75
	s_mov_b32 s7, 0xb9a8
	v_fma_f16 v33, v35, s6, v19
	v_fma_f16 v32, v67, s6, v31
	v_sub_f16_e32 v7, v44, v7
	v_sub_f16_e32 v5, v18, v5
	v_fma_f16 v21, v71, 2.0, -v72
	v_fma_f16 v6, v6, 2.0, -v20
	;; [unrolled: 1-line block ×4, first 2 shown]
	v_sub_f16_e32 v8, v49, v8
	v_sub_f16_e32 v22, v2, v22
	v_fma_f16 v61, v67, s6, v61
	v_fma_f16 v38, v35, s7, v76
	;; [unrolled: 1-line block ×3, first 2 shown]
	s_movk_i32 s10, 0x3b64
	v_fma_f16 v32, v30, s7, v32
	v_add_f16_e32 v13, v7, v5
	v_sub_f16_e32 v6, v21, v6
	v_sub_f16_e32 v20, v4, v20
	v_add_f16_e32 v50, v8, v22
	v_fma_f16 v36, v33, s10, v61
	s_movk_i32 s11, 0x361f
	v_fma_f16 v39, v38, s10, v32
	s_mov_b32 s14, 0xb61f
	v_sub_f16_e32 v48, v6, v20
	v_fma_f16 v51, v50, s6, v13
	v_fma_f16 v46, v46, 2.0, -v9
	v_fma_f16 v34, v34, 2.0, -v37
	;; [unrolled: 1-line block ×6, first 2 shown]
	v_fma_f16 v36, v38, s11, v36
	v_fma_f16 v39, v33, s14, v39
	v_fma_f16 v51, v48, s6, v51
	v_sub_f16_e32 v34, v46, v34
	v_sub_f16_e32 v37, v3, v37
	v_fma_f16 v41, v41, 2.0, -v54
	v_fma_f16 v11, v11, 2.0, -v30
	v_fma_f16 v60, v59, s7, v58
	v_fma_f16 v12, v12, 2.0, -v35
	v_fma_f16 v10, v10, 2.0, -v19
	;; [unrolled: 1-line block ×7, first 2 shown]
	v_sub_f16_e32 v53, v34, v37
	v_fma_f16 v57, v64, 2.0, -v67
	v_fma_f16 v30, v11, s7, v41
	v_fma_f16 v35, v12, s7, v60
	;; [unrolled: 1-line block ×3, first 2 shown]
	s_mov_b32 s15, 0xbb64
	v_fma_f16 v18, v18, 2.0, -v5
	v_fma_f16 v54, v54, 2.0, -v61
	;; [unrolled: 1-line block ×3, first 2 shown]
	v_fma_f16 v32, v38, s14, v31
	v_fma_f16 v5, v5, 2.0, -v13
	v_fma_f16 v13, v22, 2.0, -v50
	v_fma_f16 v30, v57, s6, v30
	v_fma_f16 v12, v59, s6, v12
	;; [unrolled: 1-line block ×3, first 2 shown]
	v_fma_f16 v21, v21, 2.0, -v6
	v_fma_f16 v2, v2, 2.0, -v22
	v_fma_f16 v33, v19, s14, v54
	v_fma_f16 v19, v19, s15, v32
	v_fma_f16 v6, v6, 2.0, -v48
	v_fma_f16 v22, v13, s7, v5
	v_fma_f16 v32, v34, 2.0, -v53
	v_fma_f16 v59, v12, s11, v30
	v_fma_f16 v11, v11, s7, v57
	v_fma_f16 v3, v3, 2.0, -v37
	v_fma_f16 v8, v49, 2.0, -v8
	;; [unrolled: 1-line block ×5, first 2 shown]
	v_fma_f16 v22, v6, s6, v22
	v_fma_f16 v6, v6, s7, v32
	;; [unrolled: 1-line block ×4, first 2 shown]
	v_sub_f16_e32 v3, v18, v3
	v_sub_f16_e32 v8, v21, v8
	;; [unrolled: 1-line block ×4, first 2 shown]
	v_fma_f16 v6, v13, s7, v6
	v_fma_f16 v60, v30, 2.0, -v59
	v_fma_f16 v57, v12, s15, v57
	v_add_f16_e32 v37, v3, v8
	v_sub_f16_e32 v20, v7, v4
	v_fma_f16 v13, v32, 2.0, -v6
	v_fma_f16 v30, v41, 2.0, -v30
	;; [unrolled: 1-line block ×8, first 2 shown]
	v_fma_f16 v12, v10, s15, v30
	v_fma_f16 v11, v32, s15, v9
	v_fma_f16 v3, v18, 2.0, -v3
	v_fma_f16 v2, v2, 2.0, -v4
	;; [unrolled: 1-line block ×4, first 2 shown]
	v_fma_f16 v55, v48, s6, v53
	v_fma_f16 v12, v32, s11, v12
	;; [unrolled: 1-line block ×3, first 2 shown]
	v_sub_f16_e32 v2, v3, v2
	v_sub_f16_e32 v7, v4, v7
	s_movk_i32 s6, 0x700
	v_fma_f16 v33, v38, s10, v33
	v_fma_f16 v30, v30, 2.0, -v12
	v_fma_f16 v9, v9, 2.0, -v10
	v_fma_f16 v3, v3, 2.0, -v2
	v_fma_f16 v4, v4, 2.0, -v7
	v_and_or_b32 v8, v45, s6, v29
	v_fma_f16 v54, v54, 2.0, -v33
	v_fma_f16 v31, v31, 2.0, -v19
	;; [unrolled: 1-line block ×3, first 2 shown]
	v_lshlrev_b32_e32 v8, 2, v8
	v_pack_b32_f16 v3, v3, v4
	v_pack_b32_f16 v4, v30, v9
	v_fma_f16 v55, v50, s7, v55
	ds_write2_b32 v8, v3, v4 offset1:16
	v_pack_b32_f16 v3, v5, v13
	v_pack_b32_f16 v4, v54, v31
	v_fma_f16 v40, v61, 2.0, -v36
	v_fma_f16 v56, v53, 2.0, -v55
	ds_write2_b32 v8, v3, v4 offset0:32 offset1:48
	v_pack_b32_f16 v3, v49, v44
	v_pack_b32_f16 v4, v60, v62
	ds_write2_b32 v8, v3, v4 offset0:64 offset1:80
	v_pack_b32_f16 v3, v52, v56
	v_pack_b32_f16 v4, v40, v47
	;; [unrolled: 3-line block ×6, first 2 shown]
	ds_write2_b32 v8, v2, v3 offset0:224 offset1:240
.LBB0_21:
	s_or_b64 exec, exec, s[4:5]
	s_waitcnt lgkmcnt(0)
	s_barrier
	ds_read2st64_b32 v[2:3], v1 offset1:4
	ds_read2st64_b32 v[4:5], v1 offset0:8 offset1:12
	ds_read2st64_b32 v[6:7], v1 offset0:16 offset1:20
	;; [unrolled: 1-line block ×3, first 2 shown]
	s_mov_b32 s4, 0xb9a8
	s_waitcnt lgkmcnt(3)
	v_lshrrev_b32_e32 v11, 16, v3
	v_mul_f16_sdwa v22, v14, v11 dst_sel:DWORD dst_unused:UNUSED_PAD src0_sel:WORD_1 src1_sel:DWORD
	s_waitcnt lgkmcnt(2)
	v_lshrrev_b32_e32 v12, 16, v4
	v_fma_f16 v22, v14, v3, v22
	v_mul_f16_sdwa v3, v14, v3 dst_sel:DWORD dst_unused:UNUSED_PAD src0_sel:WORD_1 src1_sel:DWORD
	v_fma_f16 v3, v14, v11, -v3
	v_mul_f16_sdwa v11, v15, v12 dst_sel:DWORD dst_unused:UNUSED_PAD src0_sel:WORD_1 src1_sel:DWORD
	v_lshrrev_b32_e32 v13, 16, v5
	v_fma_f16 v11, v15, v4, v11
	v_mul_f16_sdwa v4, v15, v4 dst_sel:DWORD dst_unused:UNUSED_PAD src0_sel:WORD_1 src1_sel:DWORD
	v_fma_f16 v4, v15, v12, -v4
	v_mul_f16_sdwa v12, v16, v13 dst_sel:DWORD dst_unused:UNUSED_PAD src0_sel:WORD_1 src1_sel:DWORD
	s_waitcnt lgkmcnt(1)
	v_lshrrev_b32_e32 v18, 16, v6
	v_lshrrev_b32_e32 v19, 16, v7
	s_waitcnt lgkmcnt(0)
	v_lshrrev_b32_e32 v20, 16, v8
	v_lshrrev_b32_e32 v21, 16, v9
	v_fma_f16 v12, v16, v5, v12
	v_mul_f16_sdwa v5, v16, v5 dst_sel:DWORD dst_unused:UNUSED_PAD src0_sel:WORD_1 src1_sel:DWORD
	v_fma_f16 v5, v16, v13, -v5
	v_mul_f16_sdwa v13, v17, v18 dst_sel:DWORD dst_unused:UNUSED_PAD src0_sel:WORD_1 src1_sel:DWORD
	v_mul_f16_sdwa v14, v24, v19 dst_sel:DWORD dst_unused:UNUSED_PAD src0_sel:WORD_1 src1_sel:DWORD
	;; [unrolled: 1-line block ×4, first 2 shown]
	v_fma_f16 v13, v17, v6, v13
	v_mul_f16_sdwa v6, v17, v6 dst_sel:DWORD dst_unused:UNUSED_PAD src0_sel:WORD_1 src1_sel:DWORD
	v_fma_f16 v14, v24, v7, v14
	v_mul_f16_sdwa v7, v24, v7 dst_sel:DWORD dst_unused:UNUSED_PAD src0_sel:WORD_1 src1_sel:DWORD
	;; [unrolled: 2-line block ×4, first 2 shown]
	v_lshrrev_b32_e32 v10, 16, v2
	v_fma_f16 v6, v17, v18, -v6
	v_fma_f16 v7, v24, v19, -v7
	;; [unrolled: 1-line block ×4, first 2 shown]
	v_sub_f16_e32 v13, v2, v13
	v_sub_f16_e32 v6, v10, v6
	;; [unrolled: 1-line block ×8, first 2 shown]
	v_fma_f16 v2, v2, 2.0, -v13
	v_fma_f16 v10, v10, 2.0, -v6
	;; [unrolled: 1-line block ×8, first 2 shown]
	v_add_f16_e32 v8, v13, v8
	v_sub_f16_e32 v15, v6, v15
	v_add_f16_e32 v9, v14, v9
	v_sub_f16_e32 v16, v7, v16
	v_sub_f16_e32 v11, v2, v11
	;; [unrolled: 1-line block ×3, first 2 shown]
	v_fma_f16 v13, v13, 2.0, -v8
	v_fma_f16 v6, v6, 2.0, -v15
	v_sub_f16_e32 v12, v17, v12
	v_sub_f16_e32 v5, v3, v5
	v_fma_f16 v14, v14, 2.0, -v9
	v_fma_f16 v7, v7, 2.0, -v16
	;; [unrolled: 1-line block ×6, first 2 shown]
	v_fma_f16 v18, v14, s4, v13
	v_fma_f16 v19, v7, s4, v6
	s_movk_i32 s5, 0x39a8
	v_sub_f16_e32 v17, v2, v17
	v_sub_f16_e32 v3, v10, v3
	v_fma_f16 v7, v7, s5, v18
	v_fma_f16 v14, v14, s4, v19
	;; [unrolled: 1-line block ×4, first 2 shown]
	v_fma_f16 v2, v2, 2.0, -v17
	v_fma_f16 v10, v10, 2.0, -v3
	;; [unrolled: 1-line block ×4, first 2 shown]
	v_add_f16_e32 v5, v11, v5
	v_sub_f16_e32 v12, v4, v12
	v_fma_f16 v16, v16, s5, v18
	v_fma_f16 v9, v9, s4, v19
	v_fma_f16 v11, v11, 2.0, -v5
	v_fma_f16 v4, v4, 2.0, -v12
	;; [unrolled: 1-line block ×4, first 2 shown]
	v_pack_b32_f16 v2, v2, v10
	v_pack_b32_f16 v6, v13, v6
	ds_write2st64_b32 v1, v2, v6 offset1:4
	v_pack_b32_f16 v2, v11, v4
	v_pack_b32_f16 v4, v8, v15
	ds_write2st64_b32 v1, v2, v4 offset0:8 offset1:12
	v_pack_b32_f16 v2, v17, v3
	v_pack_b32_f16 v3, v7, v14
	ds_write2st64_b32 v1, v2, v3 offset0:16 offset1:20
	v_pack_b32_f16 v2, v5, v12
	v_pack_b32_f16 v3, v16, v9
	ds_write2st64_b32 v1, v2, v3 offset0:24 offset1:28
	s_waitcnt lgkmcnt(0)
	s_barrier
	s_and_b64 exec, exec, vcc
	s_cbranch_execz .LBB0_23
; %bb.22:
	global_load_dword v25, v1, s[8:9]
	global_load_dword v26, v1, s[8:9] offset:512
	global_load_dword v29, v1, s[8:9] offset:1024
	;; [unrolled: 1-line block ×4, first 2 shown]
	ds_read2st64_b32 v[6:7], v1 offset1:2
	ds_read2st64_b32 v[10:11], v1 offset0:4 offset1:6
	ds_read2st64_b32 v[12:13], v1 offset0:8 offset1:10
	global_load_dword v34, v1, s[8:9] offset:2560
	global_load_dword v35, v1, s[8:9] offset:3072
	;; [unrolled: 1-line block ×3, first 2 shown]
	v_mad_u64_u32 v[4:5], s[4:5], s2, v28, 0
	v_mad_u64_u32 v[8:9], s[4:5], s0, v0, 0
	v_or_b32_e32 v33, 0x180, v0
	v_or_b32_e32 v32, 0x80, v0
	v_mov_b32_e32 v14, v5
	v_mov_b32_e32 v16, v9
	v_mad_u64_u32 v[20:21], s[6:7], s0, v33, 0
	v_mad_u64_u32 v[18:19], s[6:7], s0, v32, 0
	;; [unrolled: 1-line block ×4, first 2 shown]
	v_mov_b32_e32 v24, v21
	v_mov_b32_e32 v2, s12
	;; [unrolled: 1-line block ×6, first 2 shown]
	v_mad_u64_u32 v[14:15], s[6:7], s1, v32, v[22:23]
	v_lshl_add_u64 v[2:3], v[4:5], 2, v[2:3]
	s_waitcnt lgkmcnt(2)
	v_lshrrev_b32_e32 v22, 16, v6
	v_mov_b32_e32 v19, v14
	v_lshl_add_u64 v[4:5], v[8:9], 2, v[2:3]
	v_lshl_add_u64 v[8:9], v[18:19], 2, v[2:3]
	s_waitcnt lgkmcnt(1)
	v_lshrrev_b32_e32 v18, 16, v10
	v_lshrrev_b32_e32 v19, 16, v11
	s_movk_i32 s2, 0x1000
	s_lshl_b64 s[4:5], s[0:1], 10
	v_or_b32_e32 v37, 0x480, v0
	v_lshlrev_b32_e32 v38, 2, v37
	s_waitcnt vmcnt(7)
	v_mad_u64_u32 v[16:17], s[6:7], s1, v33, v[24:25]
	v_mov_b32_e32 v21, v16
	v_lshl_add_u64 v[14:15], v[20:21], 2, v[2:3]
	v_mul_f16_sdwa v20, v22, v25 dst_sel:DWORD dst_unused:UNUSED_PAD src0_sel:DWORD src1_sel:WORD_1
	v_mul_f16_sdwa v21, v6, v25 dst_sel:DWORD dst_unused:UNUSED_PAD src0_sel:DWORD src1_sel:WORD_1
	v_lshrrev_b32_e32 v24, 16, v7
	v_fma_f16 v6, v6, v25, v20
	v_fma_f16 v20, v25, v22, -v21
	global_load_dword v22, v43, s[8:9]
	s_waitcnt vmcnt(7)
	v_mul_f16_sdwa v28, v24, v26 dst_sel:DWORD dst_unused:UNUSED_PAD src0_sel:DWORD src1_sel:WORD_1
	v_mul_f16_sdwa v32, v7, v26 dst_sel:DWORD dst_unused:UNUSED_PAD src0_sel:DWORD src1_sel:WORD_1
	s_waitcnt vmcnt(6)
	v_mul_f16_sdwa v33, v18, v29 dst_sel:DWORD dst_unused:UNUSED_PAD src0_sel:DWORD src1_sel:WORD_1
	v_mul_f16_sdwa v39, v10, v29 dst_sel:DWORD dst_unused:UNUSED_PAD src0_sel:DWORD src1_sel:WORD_1
	;; [unrolled: 3-line block ×3, first 2 shown]
	v_fma_f16 v7, v7, v26, v28
	v_fma_f16 v21, v26, v24, -v32
	v_fma_f16 v10, v10, v29, v33
	v_fma_f16 v18, v29, v18, -v39
	;; [unrolled: 2-line block ×3, first 2 shown]
	v_mul_f16_e32 v6, 0x1000, v6
	v_mul_f16_sdwa v20, v20, s2 dst_sel:WORD_1 dst_unused:UNUSED_PAD src0_sel:DWORD src1_sel:DWORD
	v_mul_f16_e32 v7, 0x1000, v7
	v_mul_f16_sdwa v21, v21, s2 dst_sel:WORD_1 dst_unused:UNUSED_PAD src0_sel:DWORD src1_sel:DWORD
	;; [unrolled: 2-line block ×4, first 2 shown]
	v_or_b32_e32 v6, v20, v6
	v_lshl_add_u64 v[16:17], v[4:5], 0, s[4:5]
	v_or_b32_e32 v7, v21, v7
	v_or_b32_e32 v10, v18, v10
	;; [unrolled: 1-line block ×3, first 2 shown]
	global_store_dword v[4:5], v6, off
	global_store_dword v[8:9], v7, off
	;; [unrolled: 1-line block ×4, first 2 shown]
	global_load_dword v14, v38, s[8:9]
	s_waitcnt lgkmcnt(0)
	v_lshrrev_b32_e32 v4, 16, v12
	s_waitcnt vmcnt(9)
	v_mul_f16_sdwa v5, v4, v31 dst_sel:DWORD dst_unused:UNUSED_PAD src0_sel:DWORD src1_sel:WORD_1
	v_mul_f16_sdwa v6, v12, v31 dst_sel:DWORD dst_unused:UNUSED_PAD src0_sel:DWORD src1_sel:WORD_1
	v_fma_f16 v5, v12, v31, v5
	v_fma_f16 v4, v31, v4, -v6
	v_mul_f16_e32 v5, 0x1000, v5
	v_mul_f16_sdwa v4, v4, s2 dst_sel:WORD_1 dst_unused:UNUSED_PAD src0_sel:DWORD src1_sel:DWORD
	v_or_b32_e32 v9, 0x280, v0
	v_or_b32_e32 v6, v4, v5
	v_lshl_add_u64 v[4:5], v[16:17], 0, s[4:5]
	global_store_dword v[4:5], v6, off
	v_lshrrev_b32_e32 v6, 16, v13
	s_waitcnt vmcnt(9)
	v_mul_f16_sdwa v7, v6, v34 dst_sel:DWORD dst_unused:UNUSED_PAD src0_sel:DWORD src1_sel:WORD_1
	v_fma_f16 v7, v13, v34, v7
	v_mul_f16_e32 v12, 0x1000, v7
	v_mul_f16_sdwa v7, v13, v34 dst_sel:DWORD dst_unused:UNUSED_PAD src0_sel:DWORD src1_sel:WORD_1
	global_load_dword v13, v42, s[8:9]
	v_fma_f16 v6, v34, v6, -v7
	v_mul_f16_sdwa v15, v6, s2 dst_sel:WORD_1 dst_unused:UNUSED_PAD src0_sel:DWORD src1_sel:DWORD
	v_mad_u64_u32 v[6:7], s[6:7], s0, v9, 0
	v_or_b32_e32 v16, 0x580, v0
	ds_read2st64_b32 v[10:11], v1 offset0:12 offset1:14
	v_mov_b32_e32 v8, v7
	v_lshlrev_b32_e32 v7, 2, v16
	v_mad_u64_u32 v[8:9], s[6:7], s1, v9, v[8:9]
	global_load_dword v17, v7, s[8:9]
	v_mov_b32_e32 v7, v8
	v_or_b32_e32 v8, v15, v12
	v_lshl_add_u64 v[6:7], v[6:7], 2, v[2:3]
	global_store_dword v[6:7], v8, off
	s_waitcnt lgkmcnt(0)
	v_lshrrev_b32_e32 v6, 16, v10
	s_waitcnt vmcnt(11)
	v_mul_f16_sdwa v7, v6, v35 dst_sel:DWORD dst_unused:UNUSED_PAD src0_sel:DWORD src1_sel:WORD_1
	v_mul_f16_sdwa v8, v10, v35 dst_sel:DWORD dst_unused:UNUSED_PAD src0_sel:DWORD src1_sel:WORD_1
	v_fma_f16 v7, v10, v35, v7
	v_fma_f16 v6, v35, v6, -v8
	v_mul_f16_e32 v7, 0x1000, v7
	v_mul_f16_sdwa v6, v6, s2 dst_sel:WORD_1 dst_unused:UNUSED_PAD src0_sel:DWORD src1_sel:DWORD
	v_lshl_add_u64 v[4:5], v[4:5], 0, s[4:5]
	v_or_b32_e32 v6, v6, v7
	global_store_dword v[4:5], v6, off
	v_lshrrev_b32_e32 v6, 16, v11
	global_load_dword v12, v27, s[8:9]
	s_waitcnt vmcnt(12)
	v_mul_f16_sdwa v7, v6, v36 dst_sel:DWORD dst_unused:UNUSED_PAD src0_sel:DWORD src1_sel:WORD_1
	v_fma_f16 v7, v11, v36, v7
	v_mul_f16_e32 v15, 0x1000, v7
	v_mul_f16_sdwa v7, v11, v36 dst_sel:DWORD dst_unused:UNUSED_PAD src0_sel:DWORD src1_sel:WORD_1
	v_fma_f16 v6, v36, v6, -v7
	v_or_b32_e32 v19, 0x680, v0
	v_mul_f16_sdwa v18, v6, s2 dst_sel:WORD_1 dst_unused:UNUSED_PAD src0_sel:DWORD src1_sel:DWORD
	v_lshlrev_b32_e32 v6, 2, v19
	global_load_dword v20, v6, s[8:9]
	v_or_b32_e32 v9, 0x380, v0
	v_mad_u64_u32 v[6:7], s[6:7], s0, v9, 0
	v_mov_b32_e32 v8, v7
	v_mad_u64_u32 v[8:9], s[6:7], s1, v9, v[8:9]
	v_mov_b32_e32 v7, v8
	v_or_b32_e32 v8, v18, v15
	global_load_dword v15, v23, s[8:9]
	v_or_b32_e32 v18, 0x780, v0
	v_lshlrev_b32_e32 v0, 2, v18
	global_load_dword v21, v0, s[8:9]
	ds_read2st64_b32 v[10:11], v1 offset0:16 offset1:18
	v_lshl_add_u64 v[6:7], v[6:7], 2, v[2:3]
	global_store_dword v[6:7], v8, off
	v_lshl_add_u64 v[4:5], v[4:5], 0, s[4:5]
	s_waitcnt lgkmcnt(0)
	v_lshrrev_b32_e32 v6, 16, v10
	s_waitcnt vmcnt(15)
	v_mul_f16_sdwa v0, v6, v22 dst_sel:DWORD dst_unused:UNUSED_PAD src0_sel:DWORD src1_sel:WORD_1
	v_mul_f16_sdwa v7, v10, v22 dst_sel:DWORD dst_unused:UNUSED_PAD src0_sel:DWORD src1_sel:WORD_1
	v_fma_f16 v0, v10, v22, v0
	v_fma_f16 v6, v22, v6, -v7
	v_mul_f16_e32 v0, 0x1000, v0
	v_mul_f16_sdwa v6, v6, s2 dst_sel:WORD_1 dst_unused:UNUSED_PAD src0_sel:DWORD src1_sel:DWORD
	s_nop 0
	v_or_b32_e32 v0, v6, v0
	global_store_dword v[4:5], v0, off
	v_lshrrev_b32_e32 v0, 16, v11
	s_waitcnt vmcnt(11)
	v_mul_f16_sdwa v6, v0, v14 dst_sel:DWORD dst_unused:UNUSED_PAD src0_sel:DWORD src1_sel:WORD_1
	v_fma_f16 v6, v11, v14, v6
	v_mul_f16_e32 v22, 0x1000, v6
	v_mul_f16_sdwa v6, v11, v14 dst_sel:DWORD dst_unused:UNUSED_PAD src0_sel:DWORD src1_sel:WORD_1
	v_fma_f16 v0, v14, v0, -v6
	v_mad_u64_u32 v[6:7], s[6:7], s0, v37, 0
	ds_read2st64_b32 v[10:11], v1 offset0:20 offset1:22
	v_mul_f16_sdwa v14, v0, s2 dst_sel:WORD_1 dst_unused:UNUSED_PAD src0_sel:DWORD src1_sel:DWORD
	v_mov_b32_e32 v0, v7
	v_mad_u64_u32 v[8:9], s[6:7], s1, v37, v[0:1]
	v_mov_b32_e32 v7, v8
	v_or_b32_e32 v0, v14, v22
	v_lshl_add_u64 v[6:7], v[6:7], 2, v[2:3]
	global_store_dword v[6:7], v0, off
	s_waitcnt lgkmcnt(0)
	v_lshrrev_b32_e32 v0, 16, v10
	s_waitcnt vmcnt(10)
	v_mul_f16_sdwa v6, v0, v13 dst_sel:DWORD dst_unused:UNUSED_PAD src0_sel:DWORD src1_sel:WORD_1
	v_mul_f16_sdwa v7, v10, v13 dst_sel:DWORD dst_unused:UNUSED_PAD src0_sel:DWORD src1_sel:WORD_1
	v_fma_f16 v6, v10, v13, v6
	v_fma_f16 v0, v13, v0, -v7
	v_mul_f16_e32 v6, 0x1000, v6
	v_mul_f16_sdwa v0, v0, s2 dst_sel:WORD_1 dst_unused:UNUSED_PAD src0_sel:DWORD src1_sel:DWORD
	v_lshl_add_u64 v[4:5], v[4:5], 0, s[4:5]
	v_or_b32_e32 v0, v0, v6
	global_store_dword v[4:5], v0, off
	v_lshrrev_b32_e32 v0, 16, v11
	s_waitcnt vmcnt(10)
	v_mul_f16_sdwa v6, v0, v17 dst_sel:DWORD dst_unused:UNUSED_PAD src0_sel:DWORD src1_sel:WORD_1
	v_fma_f16 v6, v11, v17, v6
	v_mul_f16_e32 v13, 0x1000, v6
	v_mul_f16_sdwa v6, v11, v17 dst_sel:DWORD dst_unused:UNUSED_PAD src0_sel:DWORD src1_sel:WORD_1
	v_fma_f16 v0, v17, v0, -v6
	v_mad_u64_u32 v[6:7], s[6:7], s0, v16, 0
	ds_read2st64_b32 v[10:11], v1 offset0:24 offset1:26
	v_mul_f16_sdwa v14, v0, s2 dst_sel:WORD_1 dst_unused:UNUSED_PAD src0_sel:DWORD src1_sel:DWORD
	v_mov_b32_e32 v0, v7
	v_mad_u64_u32 v[8:9], s[6:7], s1, v16, v[0:1]
	v_mov_b32_e32 v7, v8
	v_or_b32_e32 v0, v14, v13
	v_lshl_add_u64 v[6:7], v[6:7], 2, v[2:3]
	global_store_dword v[6:7], v0, off
	s_waitcnt lgkmcnt(0)
	v_lshrrev_b32_e32 v0, 16, v10
	s_waitcnt vmcnt(8)
	v_mul_f16_sdwa v6, v0, v12 dst_sel:DWORD dst_unused:UNUSED_PAD src0_sel:DWORD src1_sel:WORD_1
	v_mul_f16_sdwa v7, v10, v12 dst_sel:DWORD dst_unused:UNUSED_PAD src0_sel:DWORD src1_sel:WORD_1
	v_fma_f16 v6, v10, v12, v6
	v_fma_f16 v0, v12, v0, -v7
	v_mul_f16_e32 v6, 0x1000, v6
	v_mul_f16_sdwa v0, v0, s2 dst_sel:WORD_1 dst_unused:UNUSED_PAD src0_sel:DWORD src1_sel:DWORD
	v_lshl_add_u64 v[4:5], v[4:5], 0, s[4:5]
	v_or_b32_e32 v0, v0, v6
	global_store_dword v[4:5], v0, off
	v_lshrrev_b32_e32 v0, 16, v11
	s_waitcnt vmcnt(8)
	v_mul_f16_sdwa v6, v0, v20 dst_sel:DWORD dst_unused:UNUSED_PAD src0_sel:DWORD src1_sel:WORD_1
	v_fma_f16 v6, v11, v20, v6
	v_mul_f16_e32 v10, 0x1000, v6
	v_mul_f16_sdwa v6, v11, v20 dst_sel:DWORD dst_unused:UNUSED_PAD src0_sel:DWORD src1_sel:WORD_1
	v_fma_f16 v0, v20, v0, -v6
	v_mad_u64_u32 v[6:7], s[6:7], s0, v19, 0
	v_mul_f16_sdwa v11, v0, s2 dst_sel:WORD_1 dst_unused:UNUSED_PAD src0_sel:DWORD src1_sel:DWORD
	v_mov_b32_e32 v0, v7
	v_mad_u64_u32 v[8:9], s[6:7], s1, v19, v[0:1]
	ds_read2st64_b32 v[0:1], v1 offset0:28 offset1:30
	v_mov_b32_e32 v7, v8
	v_or_b32_e32 v8, v11, v10
	v_lshl_add_u64 v[6:7], v[6:7], 2, v[2:3]
	global_store_dword v[6:7], v8, off
	s_waitcnt lgkmcnt(0)
	v_lshrrev_b32_e32 v6, 16, v0
	s_waitcnt vmcnt(8)
	v_mul_f16_sdwa v7, v6, v15 dst_sel:DWORD dst_unused:UNUSED_PAD src0_sel:DWORD src1_sel:WORD_1
	v_fma_f16 v7, v0, v15, v7
	v_mul_f16_sdwa v0, v0, v15 dst_sel:DWORD dst_unused:UNUSED_PAD src0_sel:DWORD src1_sel:WORD_1
	v_fma_f16 v0, v15, v6, -v0
	v_mul_f16_e32 v7, 0x1000, v7
	v_mul_f16_sdwa v0, v0, s2 dst_sel:WORD_1 dst_unused:UNUSED_PAD src0_sel:DWORD src1_sel:DWORD
	v_lshl_add_u64 v[4:5], v[4:5], 0, s[4:5]
	v_or_b32_e32 v0, v0, v7
	global_store_dword v[4:5], v0, off
	v_lshrrev_b32_e32 v0, 16, v1
	s_waitcnt vmcnt(8)
	v_mul_f16_sdwa v4, v0, v21 dst_sel:DWORD dst_unused:UNUSED_PAD src0_sel:DWORD src1_sel:WORD_1
	v_fma_f16 v4, v1, v21, v4
	v_mul_f16_sdwa v1, v1, v21 dst_sel:DWORD dst_unused:UNUSED_PAD src0_sel:DWORD src1_sel:WORD_1
	v_fma_f16 v0, v21, v0, -v1
	v_mul_f16_sdwa v7, v0, s2 dst_sel:WORD_1 dst_unused:UNUSED_PAD src0_sel:DWORD src1_sel:DWORD
	v_mad_u64_u32 v[0:1], s[2:3], s0, v18, 0
	v_mul_f16_e32 v6, 0x1000, v4
	v_mov_b32_e32 v4, v1
	v_mad_u64_u32 v[4:5], s[0:1], s1, v18, v[4:5]
	v_mov_b32_e32 v1, v4
	v_or_b32_e32 v4, v7, v6
	v_lshl_add_u64 v[0:1], v[0:1], 2, v[2:3]
	global_store_dword v[0:1], v4, off
.LBB0_23:
	s_endpgm
	.section	.rodata,"a",@progbits
	.p2align	6, 0x0
	.amdhsa_kernel bluestein_single_back_len2048_dim1_half_op_CI_CI
		.amdhsa_group_segment_fixed_size 8192
		.amdhsa_private_segment_fixed_size 0
		.amdhsa_kernarg_size 104
		.amdhsa_user_sgpr_count 2
		.amdhsa_user_sgpr_dispatch_ptr 0
		.amdhsa_user_sgpr_queue_ptr 0
		.amdhsa_user_sgpr_kernarg_segment_ptr 1
		.amdhsa_user_sgpr_dispatch_id 0
		.amdhsa_user_sgpr_kernarg_preload_length 0
		.amdhsa_user_sgpr_kernarg_preload_offset 0
		.amdhsa_user_sgpr_private_segment_size 0
		.amdhsa_uses_dynamic_stack 0
		.amdhsa_enable_private_segment 0
		.amdhsa_system_sgpr_workgroup_id_x 1
		.amdhsa_system_sgpr_workgroup_id_y 0
		.amdhsa_system_sgpr_workgroup_id_z 0
		.amdhsa_system_sgpr_workgroup_info 0
		.amdhsa_system_vgpr_workitem_id 0
		.amdhsa_next_free_vgpr 118
		.amdhsa_next_free_sgpr 16
		.amdhsa_accum_offset 120
		.amdhsa_reserve_vcc 1
		.amdhsa_float_round_mode_32 0
		.amdhsa_float_round_mode_16_64 0
		.amdhsa_float_denorm_mode_32 3
		.amdhsa_float_denorm_mode_16_64 3
		.amdhsa_dx10_clamp 1
		.amdhsa_ieee_mode 1
		.amdhsa_fp16_overflow 0
		.amdhsa_tg_split 0
		.amdhsa_exception_fp_ieee_invalid_op 0
		.amdhsa_exception_fp_denorm_src 0
		.amdhsa_exception_fp_ieee_div_zero 0
		.amdhsa_exception_fp_ieee_overflow 0
		.amdhsa_exception_fp_ieee_underflow 0
		.amdhsa_exception_fp_ieee_inexact 0
		.amdhsa_exception_int_div_zero 0
	.end_amdhsa_kernel
	.text
.Lfunc_end0:
	.size	bluestein_single_back_len2048_dim1_half_op_CI_CI, .Lfunc_end0-bluestein_single_back_len2048_dim1_half_op_CI_CI
                                        ; -- End function
	.section	.AMDGPU.csdata,"",@progbits
; Kernel info:
; codeLenInByte = 12928
; NumSgprs: 22
; NumVgprs: 118
; NumAgprs: 0
; TotalNumVgprs: 118
; ScratchSize: 0
; MemoryBound: 0
; FloatMode: 240
; IeeeMode: 1
; LDSByteSize: 8192 bytes/workgroup (compile time only)
; SGPRBlocks: 2
; VGPRBlocks: 14
; NumSGPRsForWavesPerEU: 22
; NumVGPRsForWavesPerEU: 118
; AccumOffset: 120
; Occupancy: 4
; WaveLimiterHint : 1
; COMPUTE_PGM_RSRC2:SCRATCH_EN: 0
; COMPUTE_PGM_RSRC2:USER_SGPR: 2
; COMPUTE_PGM_RSRC2:TRAP_HANDLER: 0
; COMPUTE_PGM_RSRC2:TGID_X_EN: 1
; COMPUTE_PGM_RSRC2:TGID_Y_EN: 0
; COMPUTE_PGM_RSRC2:TGID_Z_EN: 0
; COMPUTE_PGM_RSRC2:TIDIG_COMP_CNT: 0
; COMPUTE_PGM_RSRC3_GFX90A:ACCUM_OFFSET: 29
; COMPUTE_PGM_RSRC3_GFX90A:TG_SPLIT: 0
	.text
	.p2alignl 6, 3212836864
	.fill 256, 4, 3212836864
	.type	__hip_cuid_909b301b65d38d4d,@object ; @__hip_cuid_909b301b65d38d4d
	.section	.bss,"aw",@nobits
	.globl	__hip_cuid_909b301b65d38d4d
__hip_cuid_909b301b65d38d4d:
	.byte	0                               ; 0x0
	.size	__hip_cuid_909b301b65d38d4d, 1

	.ident	"AMD clang version 19.0.0git (https://github.com/RadeonOpenCompute/llvm-project roc-6.4.0 25133 c7fe45cf4b819c5991fe208aaa96edf142730f1d)"
	.section	".note.GNU-stack","",@progbits
	.addrsig
	.addrsig_sym __hip_cuid_909b301b65d38d4d
	.amdgpu_metadata
---
amdhsa.kernels:
  - .agpr_count:     0
    .args:
      - .actual_access:  read_only
        .address_space:  global
        .offset:         0
        .size:           8
        .value_kind:     global_buffer
      - .actual_access:  read_only
        .address_space:  global
        .offset:         8
        .size:           8
        .value_kind:     global_buffer
      - .actual_access:  read_only
        .address_space:  global
        .offset:         16
        .size:           8
        .value_kind:     global_buffer
      - .actual_access:  read_only
        .address_space:  global
        .offset:         24
        .size:           8
        .value_kind:     global_buffer
      - .actual_access:  read_only
        .address_space:  global
        .offset:         32
        .size:           8
        .value_kind:     global_buffer
      - .offset:         40
        .size:           8
        .value_kind:     by_value
      - .address_space:  global
        .offset:         48
        .size:           8
        .value_kind:     global_buffer
      - .address_space:  global
        .offset:         56
        .size:           8
        .value_kind:     global_buffer
      - .address_space:  global
        .offset:         64
        .size:           8
        .value_kind:     global_buffer
      - .address_space:  global
        .offset:         72
        .size:           8
        .value_kind:     global_buffer
      - .offset:         80
        .size:           4
        .value_kind:     by_value
      - .address_space:  global
        .offset:         88
        .size:           8
        .value_kind:     global_buffer
      - .address_space:  global
        .offset:         96
        .size:           8
        .value_kind:     global_buffer
    .group_segment_fixed_size: 8192
    .kernarg_segment_align: 8
    .kernarg_segment_size: 104
    .language:       OpenCL C
    .language_version:
      - 2
      - 0
    .max_flat_workgroup_size: 256
    .name:           bluestein_single_back_len2048_dim1_half_op_CI_CI
    .private_segment_fixed_size: 0
    .sgpr_count:     22
    .sgpr_spill_count: 0
    .symbol:         bluestein_single_back_len2048_dim1_half_op_CI_CI.kd
    .uniform_work_group_size: 1
    .uses_dynamic_stack: false
    .vgpr_count:     118
    .vgpr_spill_count: 0
    .wavefront_size: 64
amdhsa.target:   amdgcn-amd-amdhsa--gfx950
amdhsa.version:
  - 1
  - 2
...

	.end_amdgpu_metadata
